;; amdgpu-corpus repo=ROCm/rocFFT kind=compiled arch=gfx906 opt=O3
	.text
	.amdgcn_target "amdgcn-amd-amdhsa--gfx906"
	.amdhsa_code_object_version 6
	.protected	bluestein_single_fwd_len2401_dim1_dp_op_CI_CI ; -- Begin function bluestein_single_fwd_len2401_dim1_dp_op_CI_CI
	.globl	bluestein_single_fwd_len2401_dim1_dp_op_CI_CI
	.p2align	8
	.type	bluestein_single_fwd_len2401_dim1_dp_op_CI_CI,@function
bluestein_single_fwd_len2401_dim1_dp_op_CI_CI: ; @bluestein_single_fwd_len2401_dim1_dp_op_CI_CI
; %bb.0:
	s_load_dwordx4 s[12:15], s[4:5], 0x28
	s_mov_b64 s[42:43], s[2:3]
	v_mul_u32_u24_e32 v3, 0x53a, v0
	s_mov_b64 s[40:41], s[0:1]
	v_add_u32_sdwa v1, s6, v3 dst_sel:DWORD dst_unused:UNUSED_PAD src0_sel:DWORD src1_sel:WORD_1
	v_mov_b32_e32 v2, 0
	s_add_u32 s40, s40, s7
	s_waitcnt lgkmcnt(0)
	v_cmp_gt_u64_e32 vcc, s[12:13], v[1:2]
	s_addc_u32 s41, s41, 0
	s_and_saveexec_b64 s[0:1], vcc
	s_cbranch_execz .LBB0_2
; %bb.1:
	s_load_dwordx4 s[8:11], s[4:5], 0x0
	s_load_dwordx4 s[16:19], s[4:5], 0x18
	s_load_dwordx2 s[12:13], s[4:5], 0x38
	v_mov_b32_e32 v2, 49
	v_mul_lo_u16_sdwa v2, v3, v2 dst_sel:DWORD dst_unused:UNUSED_PAD src0_sel:WORD_1 src1_sel:DWORD
	v_sub_u16_e32 v214, v0, v2
	s_waitcnt lgkmcnt(0)
	s_load_dwordx4 s[4:7], s[16:17], 0x0
	s_load_dwordx4 s[0:3], s[18:19], 0x0
	v_lshlrev_b32_e32 v196, 4, v214
	s_movk_i32 s31, 0x1000
	s_movk_i32 s30, 0x2000
	;; [unrolled: 1-line block ×3, first 2 shown]
	s_waitcnt lgkmcnt(0)
	v_mad_u64_u32 v[4:5], s[16:17], s2, v1, 0
	s_movk_i32 s28, 0x5000
	s_movk_i32 s34, 0x3000
	v_mov_b32_e32 v0, v5
	v_mad_u64_u32 v[2:3], s[2:3], s3, v1, v[0:1]
	s_movk_i32 s33, 0x7000
	s_mov_b32 s26, 0x37e14327
	v_mov_b32_e32 v5, v2
	buffer_store_dword v4, off, s[40:43], 0 offset:20 ; 4-byte Folded Spill
	s_nop 0
	buffer_store_dword v5, off, s[40:43], 0 offset:24 ; 4-byte Folded Spill
	global_load_dwordx4 v[10:13], v196, s[8:9]
	v_mad_u64_u32 v[2:3], s[2:3], s6, v1, 0
	s_movk_i32 s6, 0x6000
	s_mov_b32 s27, 0x3fe948f6
	v_mov_b32_e32 v0, v3
	v_mad_u64_u32 v[0:1], s[2:3], s7, v1, v[0:1]
	s_mov_b32 s21, 0xbfe11646
	s_mov_b32 s20, 0xe976ee23
	v_mov_b32_e32 v3, v0
	v_mad_u64_u32 v[0:1], s[2:3], s4, v214, 0
	s_mov_b32 s18, 0xaaaaaaaa
	s_mov_b32 s19, 0xbff2aaaa
	v_mad_u64_u32 v[4:5], s[2:3], s5, v214, v[1:2]
	v_lshlrev_b64 v[2:3], 4, v[2:3]
	s_mul_i32 s2, s5, 0x1570
	v_mov_b32_e32 v1, v4
	v_add_co_u32_e32 v2, vcc, s14, v2
	v_mov_b32_e32 v4, s15
	v_lshlrev_b64 v[0:1], 4, v[0:1]
	v_addc_co_u32_e32 v3, vcc, v4, v3, vcc
	v_add_co_u32_e32 v8, vcc, v2, v0
	v_addc_co_u32_e32 v9, vcc, v3, v1, vcc
	global_load_dwordx4 v[0:3], v[8:9], off
	v_add_co_u32_e32 v18, vcc, s8, v196
	v_mov_b32_e32 v4, s9
	v_addc_co_u32_e32 v23, vcc, 0, v4, vcc
	s_mul_hi_u32 s3, s4, 0x1570
	s_add_i32 s2, s3, s2
	s_mul_i32 s3, s4, 0x1570
	v_mov_b32_e32 v22, v18
	v_mov_b32_e32 v26, v22
	v_mov_b32_e32 v27, v23
	s_mulk_i32 s5, 0x8270
	v_mov_b32_e32 v30, v26
	v_mov_b32_e32 v31, v27
	s_mov_b32 s14, 0x5476071b
	s_mov_b32 s15, 0x3fe77f67
	s_mov_b32 s25, 0x3febfeb5
	s_mov_b32 s17, 0xbfe77f67
	s_mov_b32 s16, s14
	s_mov_b32 s23, 0xbfd5d0dc
	s_movk_i32 s35, 0x2493
	s_waitcnt vmcnt(1)
	buffer_store_dword v10, off, s[40:43], 0 offset:28 ; 4-byte Folded Spill
	s_nop 0
	buffer_store_dword v11, off, s[40:43], 0 offset:32 ; 4-byte Folded Spill
	buffer_store_dword v12, off, s[40:43], 0 offset:36 ; 4-byte Folded Spill
	;; [unrolled: 1-line block ×3, first 2 shown]
	s_waitcnt vmcnt(4)
	v_mul_f64 v[4:5], v[2:3], v[12:13]
	v_fma_f64 v[4:5], v[0:1], v[10:11], v[4:5]
	v_mul_f64 v[0:1], v[0:1], v[12:13]
	v_fma_f64 v[6:7], v[2:3], v[10:11], -v[0:1]
	v_add_co_u32_e32 v10, vcc, s3, v8
	v_mov_b32_e32 v0, s2
	v_addc_co_u32_e32 v11, vcc, v9, v0, vcc
	v_add_co_u32_e32 v8, vcc, s31, v18
	v_addc_co_u32_e32 v9, vcc, 0, v23, vcc
	global_load_dwordx4 v[12:15], v[8:9], off offset:1392
	global_load_dwordx4 v[0:3], v[10:11], off
	ds_write_b128 v196, v[4:7]
	s_waitcnt vmcnt(1)
	buffer_store_dword v12, off, s[40:43], 0 offset:44 ; 4-byte Folded Spill
	s_nop 0
	buffer_store_dword v13, off, s[40:43], 0 offset:48 ; 4-byte Folded Spill
	buffer_store_dword v14, off, s[40:43], 0 offset:52 ; 4-byte Folded Spill
	;; [unrolled: 1-line block ×3, first 2 shown]
	s_waitcnt vmcnt(4)
	v_mul_f64 v[4:5], v[2:3], v[14:15]
	v_fma_f64 v[4:5], v[0:1], v[12:13], v[4:5]
	v_mul_f64 v[0:1], v[0:1], v[14:15]
	v_fma_f64 v[6:7], v[2:3], v[12:13], -v[0:1]
	v_add_co_u32_e32 v12, vcc, s3, v10
	v_mov_b32_e32 v0, s2
	v_addc_co_u32_e32 v13, vcc, v11, v0, vcc
	v_add_co_u32_e32 v10, vcc, s30, v18
	v_addc_co_u32_e32 v11, vcc, 0, v23, vcc
	global_load_dwordx4 v[14:17], v[10:11], off offset:2784
	global_load_dwordx4 v[0:3], v[12:13], off
	ds_write_b128 v196, v[4:7] offset:5488
	s_waitcnt vmcnt(1)
	buffer_store_dword v14, off, s[40:43], 0 offset:60 ; 4-byte Folded Spill
	s_nop 0
	buffer_store_dword v15, off, s[40:43], 0 offset:64 ; 4-byte Folded Spill
	buffer_store_dword v16, off, s[40:43], 0 offset:68 ; 4-byte Folded Spill
	;; [unrolled: 1-line block ×3, first 2 shown]
	s_waitcnt vmcnt(4)
	v_mul_f64 v[4:5], v[2:3], v[16:17]
	v_fma_f64 v[4:5], v[0:1], v[14:15], v[4:5]
	v_mul_f64 v[0:1], v[0:1], v[16:17]
	v_fma_f64 v[6:7], v[2:3], v[14:15], -v[0:1]
	v_mov_b32_e32 v0, s2
	ds_write_b128 v196, v[4:7] offset:10976
	v_add_co_u32_e32 v6, vcc, s3, v12
	v_addc_co_u32_e32 v7, vcc, v13, v0, vcc
	v_add_co_u32_e32 v0, vcc, s29, v18
	v_addc_co_u32_e32 v1, vcc, 0, v23, vcc
	global_load_dwordx4 v[14:17], v[0:1], off offset:80
	global_load_dwordx4 v[2:5], v[6:7], off
	s_waitcnt vmcnt(1)
	buffer_store_dword v14, off, s[40:43], 0 offset:76 ; 4-byte Folded Spill
	s_nop 0
	buffer_store_dword v15, off, s[40:43], 0 offset:80 ; 4-byte Folded Spill
	buffer_store_dword v16, off, s[40:43], 0 offset:84 ; 4-byte Folded Spill
	;; [unrolled: 1-line block ×3, first 2 shown]
	s_waitcnt vmcnt(4)
	v_mul_f64 v[12:13], v[4:5], v[16:17]
	v_fma_f64 v[12:13], v[2:3], v[14:15], v[12:13]
	v_mul_f64 v[2:3], v[2:3], v[16:17]
	v_add_co_u32_e32 v16, vcc, s3, v6
	v_fma_f64 v[14:15], v[4:5], v[14:15], -v[2:3]
	v_mov_b32_e32 v2, s2
	v_addc_co_u32_e32 v17, vcc, v7, v2, vcc
	v_add_co_u32_e32 v6, vcc, s28, v22
	v_addc_co_u32_e32 v7, vcc, 0, v23, vcc
	global_load_dwordx4 v[18:21], v[6:7], off offset:1472
	global_load_dwordx4 v[2:5], v[16:17], off
	ds_write_b128 v196, v[12:15] offset:16464
	s_waitcnt vmcnt(1)
	buffer_store_dword v18, off, s[40:43], 0 offset:92 ; 4-byte Folded Spill
	s_nop 0
	buffer_store_dword v19, off, s[40:43], 0 offset:96 ; 4-byte Folded Spill
	buffer_store_dword v20, off, s[40:43], 0 offset:100 ; 4-byte Folded Spill
	buffer_store_dword v21, off, s[40:43], 0 offset:104 ; 4-byte Folded Spill
	s_waitcnt vmcnt(4)
	v_mul_f64 v[12:13], v[4:5], v[20:21]
	v_fma_f64 v[12:13], v[2:3], v[18:19], v[12:13]
	v_mul_f64 v[2:3], v[2:3], v[20:21]
	v_fma_f64 v[14:15], v[4:5], v[18:19], -v[2:3]
	v_add_co_u32_e32 v2, vcc, s3, v16
	v_mov_b32_e32 v3, s2
	v_addc_co_u32_e32 v3, vcc, v17, v3, vcc
	v_add_co_u32_e32 v4, vcc, s6, v22
	v_addc_co_u32_e32 v5, vcc, 0, v23, vcc
	global_load_dwordx4 v[18:21], v[4:5], off offset:2864
	ds_write_b128 v196, v[12:15] offset:21952
	global_load_dwordx4 v[12:15], v[2:3], off
	s_mov_b32 s6, 0x8000
	s_waitcnt vmcnt(1)
	buffer_store_dword v18, off, s[40:43], 0 offset:108 ; 4-byte Folded Spill
	s_nop 0
	buffer_store_dword v19, off, s[40:43], 0 offset:112 ; 4-byte Folded Spill
	buffer_store_dword v20, off, s[40:43], 0 offset:116 ; 4-byte Folded Spill
	;; [unrolled: 1-line block ×3, first 2 shown]
	s_waitcnt vmcnt(4)
	v_mul_f64 v[16:17], v[14:15], v[20:21]
	v_fma_f64 v[16:17], v[12:13], v[18:19], v[16:17]
	v_mul_f64 v[12:13], v[12:13], v[20:21]
	v_add_co_u32_e32 v20, vcc, s3, v2
	v_mov_b32_e32 v2, s2
	v_addc_co_u32_e32 v21, vcc, v3, v2, vcc
	v_add_co_u32_e32 v2, vcc, s6, v26
	v_addc_co_u32_e32 v3, vcc, 0, v23, vcc
	global_load_dwordx4 v[22:25], v[2:3], off offset:160
	v_fma_f64 v[18:19], v[14:15], v[18:19], -v[12:13]
	global_load_dwordx4 v[12:15], v[20:21], off
	s_mul_hi_u32 s6, s4, 0xffff8270
	s_sub_i32 s6, s6, s4
	v_add_co_u32_e32 v215, vcc, 49, v214
	s_add_i32 s5, s6, s5
	s_mulk_i32 s4, 0x8270
	ds_write_b128 v196, v[16:19] offset:27440
	v_add_co_u32_e32 v20, vcc, s4, v20
	s_movk_i32 s6, 0x62
	s_waitcnt vmcnt(1)
	buffer_store_dword v22, off, s[40:43], 0 offset:124 ; 4-byte Folded Spill
	s_nop 0
	buffer_store_dword v23, off, s[40:43], 0 offset:128 ; 4-byte Folded Spill
	buffer_store_dword v24, off, s[40:43], 0 offset:132 ; 4-byte Folded Spill
	;; [unrolled: 1-line block ×3, first 2 shown]
	s_waitcnt vmcnt(4)
	v_mul_f64 v[16:17], v[14:15], v[24:25]
	v_fma_f64 v[16:17], v[12:13], v[22:23], v[16:17]
	v_mul_f64 v[12:13], v[12:13], v[24:25]
	v_fma_f64 v[18:19], v[14:15], v[22:23], -v[12:13]
	v_mov_b32_e32 v12, s5
	v_addc_co_u32_e32 v21, vcc, v21, v12, vcc
	ds_write_b128 v196, v[16:19] offset:32928
	global_load_dwordx4 v[12:15], v[20:21], off
	global_load_dwordx4 v[22:25], v196, s[8:9] offset:784
	v_add_co_u32_e32 v20, vcc, s3, v20
	s_waitcnt vmcnt(0)
	buffer_store_dword v22, off, s[40:43], 0 offset:220 ; 4-byte Folded Spill
	s_nop 0
	buffer_store_dword v23, off, s[40:43], 0 offset:224 ; 4-byte Folded Spill
	buffer_store_dword v24, off, s[40:43], 0 offset:228 ; 4-byte Folded Spill
	buffer_store_dword v25, off, s[40:43], 0 offset:232 ; 4-byte Folded Spill
	v_mul_f64 v[16:17], v[14:15], v[24:25]
	v_fma_f64 v[16:17], v[12:13], v[22:23], v[16:17]
	v_mul_f64 v[12:13], v[12:13], v[24:25]
	v_fma_f64 v[18:19], v[14:15], v[22:23], -v[12:13]
	v_mov_b32_e32 v12, s2
	v_addc_co_u32_e32 v21, vcc, v21, v12, vcc
	ds_write_b128 v196, v[16:19] offset:784
	global_load_dwordx4 v[12:15], v[20:21], off
	global_load_dwordx4 v[22:25], v[8:9], off offset:2176
	v_add_co_u32_e32 v20, vcc, s3, v20
	s_waitcnt vmcnt(0)
	buffer_store_dword v22, off, s[40:43], 0 offset:188 ; 4-byte Folded Spill
	s_nop 0
	buffer_store_dword v23, off, s[40:43], 0 offset:192 ; 4-byte Folded Spill
	buffer_store_dword v24, off, s[40:43], 0 offset:196 ; 4-byte Folded Spill
	buffer_store_dword v25, off, s[40:43], 0 offset:200 ; 4-byte Folded Spill
	v_mul_f64 v[16:17], v[14:15], v[24:25]
	v_fma_f64 v[16:17], v[12:13], v[22:23], v[16:17]
	v_mul_f64 v[12:13], v[12:13], v[24:25]
	v_fma_f64 v[18:19], v[14:15], v[22:23], -v[12:13]
	v_mov_b32_e32 v12, s2
	v_addc_co_u32_e32 v21, vcc, v21, v12, vcc
	ds_write_b128 v196, v[16:19] offset:6272
	global_load_dwordx4 v[12:15], v[20:21], off
	global_load_dwordx4 v[22:25], v[10:11], off offset:3568
	;; [unrolled: 16-line block ×5, first 2 shown]
	v_add_co_u32_e32 v20, vcc, s3, v20
	s_waitcnt vmcnt(0)
	buffer_store_dword v22, off, s[40:43], 0 offset:428 ; 4-byte Folded Spill
	s_nop 0
	buffer_store_dword v23, off, s[40:43], 0 offset:432 ; 4-byte Folded Spill
	buffer_store_dword v24, off, s[40:43], 0 offset:436 ; 4-byte Folded Spill
	;; [unrolled: 1-line block ×3, first 2 shown]
	v_mul_f64 v[16:17], v[14:15], v[24:25]
	v_fma_f64 v[16:17], v[12:13], v[22:23], v[16:17]
	v_mul_f64 v[12:13], v[12:13], v[24:25]
	v_fma_f64 v[18:19], v[14:15], v[22:23], -v[12:13]
	v_mov_b32_e32 v12, s2
	v_addc_co_u32_e32 v21, vcc, v21, v12, vcc
	v_add_co_u32_e32 v216, vcc, s6, v214
	s_movk_i32 s6, 0x93
	ds_write_b128 v196, v[16:19] offset:28224
	global_load_dwordx4 v[12:15], v[20:21], off
	global_load_dwordx4 v[22:25], v[2:3], off offset:944
	v_add_co_u32_e32 v20, vcc, s4, v20
	s_waitcnt vmcnt(0)
	buffer_store_dword v22, off, s[40:43], 0 offset:476 ; 4-byte Folded Spill
	s_nop 0
	buffer_store_dword v23, off, s[40:43], 0 offset:480 ; 4-byte Folded Spill
	buffer_store_dword v24, off, s[40:43], 0 offset:484 ; 4-byte Folded Spill
	;; [unrolled: 1-line block ×3, first 2 shown]
	v_mul_f64 v[16:17], v[14:15], v[24:25]
	v_fma_f64 v[16:17], v[12:13], v[22:23], v[16:17]
	v_mul_f64 v[12:13], v[12:13], v[24:25]
	v_fma_f64 v[18:19], v[14:15], v[22:23], -v[12:13]
	v_mov_b32_e32 v12, s5
	v_addc_co_u32_e32 v21, vcc, v21, v12, vcc
	ds_write_b128 v196, v[16:19] offset:33712
	global_load_dwordx4 v[12:15], v[20:21], off
	global_load_dwordx4 v[22:25], v196, s[8:9] offset:1568
	v_add_co_u32_e32 v20, vcc, s3, v20
	s_waitcnt vmcnt(0)
	buffer_store_dword v22, off, s[40:43], 0 offset:524 ; 4-byte Folded Spill
	s_nop 0
	buffer_store_dword v23, off, s[40:43], 0 offset:528 ; 4-byte Folded Spill
	buffer_store_dword v24, off, s[40:43], 0 offset:532 ; 4-byte Folded Spill
	;; [unrolled: 1-line block ×3, first 2 shown]
	v_mul_f64 v[16:17], v[14:15], v[24:25]
	v_fma_f64 v[16:17], v[12:13], v[22:23], v[16:17]
	v_mul_f64 v[12:13], v[12:13], v[24:25]
	v_fma_f64 v[18:19], v[14:15], v[22:23], -v[12:13]
	v_mov_b32_e32 v12, s2
	v_addc_co_u32_e32 v21, vcc, v21, v12, vcc
	ds_write_b128 v196, v[16:19] offset:1568
	global_load_dwordx4 v[12:15], v[20:21], off
	global_load_dwordx4 v[22:25], v[8:9], off offset:2960
	s_waitcnt vmcnt(0)
	buffer_store_dword v22, off, s[40:43], 0 offset:588 ; 4-byte Folded Spill
	s_nop 0
	buffer_store_dword v23, off, s[40:43], 0 offset:592 ; 4-byte Folded Spill
	buffer_store_dword v24, off, s[40:43], 0 offset:596 ; 4-byte Folded Spill
	buffer_store_dword v25, off, s[40:43], 0 offset:600 ; 4-byte Folded Spill
	v_mul_f64 v[16:17], v[14:15], v[24:25]
	v_fma_f64 v[16:17], v[12:13], v[22:23], v[16:17]
	v_mul_f64 v[12:13], v[12:13], v[24:25]
	v_fma_f64 v[18:19], v[14:15], v[22:23], -v[12:13]
	v_add_co_u32_e32 v12, vcc, s3, v20
	v_mov_b32_e32 v13, s2
	v_addc_co_u32_e32 v13, vcc, v21, v13, vcc
	v_add_co_u32_e32 v14, vcc, s34, v26
	v_addc_co_u32_e32 v15, vcc, 0, v27, vcc
	global_load_dwordx4 v[22:25], v[14:15], off offset:256
	ds_write_b128 v196, v[16:19] offset:7056
	global_load_dwordx4 v[16:19], v[12:13], off
	v_add_co_u32_e32 v12, vcc, s3, v12
	s_waitcnt vmcnt(1)
	buffer_store_dword v22, off, s[40:43], 0 offset:652 ; 4-byte Folded Spill
	s_nop 0
	buffer_store_dword v23, off, s[40:43], 0 offset:656 ; 4-byte Folded Spill
	buffer_store_dword v24, off, s[40:43], 0 offset:660 ; 4-byte Folded Spill
	;; [unrolled: 1-line block ×3, first 2 shown]
	s_waitcnt vmcnt(4)
	v_mul_f64 v[20:21], v[18:19], v[24:25]
	v_fma_f64 v[20:21], v[16:17], v[22:23], v[20:21]
	v_mul_f64 v[16:17], v[16:17], v[24:25]
	v_fma_f64 v[22:23], v[18:19], v[22:23], -v[16:17]
	v_mov_b32_e32 v16, s2
	v_addc_co_u32_e32 v13, vcc, v13, v16, vcc
	ds_write_b128 v196, v[20:23] offset:12544
	global_load_dwordx4 v[16:19], v[12:13], off
	global_load_dwordx4 v[22:25], v[0:1], off offset:1648
	v_add_co_u32_e32 v12, vcc, s3, v12
	s_waitcnt vmcnt(0)
	buffer_store_dword v22, off, s[40:43], 0 offset:604 ; 4-byte Folded Spill
	s_nop 0
	buffer_store_dword v23, off, s[40:43], 0 offset:608 ; 4-byte Folded Spill
	buffer_store_dword v24, off, s[40:43], 0 offset:612 ; 4-byte Folded Spill
	;; [unrolled: 1-line block ×3, first 2 shown]
	v_mul_f64 v[20:21], v[18:19], v[24:25]
	v_fma_f64 v[20:21], v[16:17], v[22:23], v[20:21]
	v_mul_f64 v[16:17], v[16:17], v[24:25]
	v_fma_f64 v[22:23], v[18:19], v[22:23], -v[16:17]
	v_mov_b32_e32 v16, s2
	v_addc_co_u32_e32 v13, vcc, v13, v16, vcc
	ds_write_b128 v196, v[20:23] offset:18032
	global_load_dwordx4 v[16:19], v[12:13], off
	global_load_dwordx4 v[22:25], v[6:7], off offset:3040
	s_waitcnt vmcnt(0)
	buffer_store_dword v22, off, s[40:43], 0 offset:556 ; 4-byte Folded Spill
	s_nop 0
	buffer_store_dword v23, off, s[40:43], 0 offset:560 ; 4-byte Folded Spill
	buffer_store_dword v24, off, s[40:43], 0 offset:564 ; 4-byte Folded Spill
	;; [unrolled: 1-line block ×5, first 2 shown]
	v_mul_f64 v[20:21], v[18:19], v[24:25]
	v_fma_f64 v[20:21], v[16:17], v[22:23], v[20:21]
	v_mul_f64 v[16:17], v[16:17], v[24:25]
	v_add_co_u32_e32 v24, vcc, s3, v12
	v_mov_b32_e32 v12, s2
	v_addc_co_u32_e32 v25, vcc, v13, v12, vcc
	v_add_co_u32_e32 v12, vcc, s33, v26
	v_addc_co_u32_e32 v13, vcc, 0, v27, vcc
	global_load_dwordx4 v[26:29], v[12:13], off offset:336
	v_fma_f64 v[22:23], v[18:19], v[22:23], -v[16:17]
	global_load_dwordx4 v[16:19], v[24:25], off
	v_add_co_u32_e32 v24, vcc, s3, v24
	ds_write_b128 v196, v[20:23] offset:23520
	s_waitcnt vmcnt(1)
	buffer_store_dword v26, off, s[40:43], 0 offset:508 ; 4-byte Folded Spill
	s_nop 0
	buffer_store_dword v27, off, s[40:43], 0 offset:512 ; 4-byte Folded Spill
	buffer_store_dword v28, off, s[40:43], 0 offset:516 ; 4-byte Folded Spill
	;; [unrolled: 1-line block ×3, first 2 shown]
	s_waitcnt vmcnt(4)
	v_mul_f64 v[20:21], v[18:19], v[28:29]
	v_fma_f64 v[20:21], v[16:17], v[26:27], v[20:21]
	v_mul_f64 v[16:17], v[16:17], v[28:29]
	v_fma_f64 v[22:23], v[18:19], v[26:27], -v[16:17]
	v_mov_b32_e32 v16, s2
	v_addc_co_u32_e32 v25, vcc, v25, v16, vcc
	v_add_co_u32_e32 v217, vcc, s6, v214
	s_movk_i32 s6, 0xc4
	ds_write_b128 v196, v[20:23] offset:29008
	global_load_dwordx4 v[16:19], v[24:25], off
	global_load_dwordx4 v[26:29], v[2:3], off offset:1728
	v_add_co_u32_e32 v24, vcc, s4, v24
	s_waitcnt vmcnt(0)
	buffer_store_dword v26, off, s[40:43], 0 offset:620 ; 4-byte Folded Spill
	s_nop 0
	buffer_store_dword v27, off, s[40:43], 0 offset:624 ; 4-byte Folded Spill
	buffer_store_dword v28, off, s[40:43], 0 offset:628 ; 4-byte Folded Spill
	;; [unrolled: 1-line block ×3, first 2 shown]
	v_mul_f64 v[20:21], v[18:19], v[28:29]
	v_fma_f64 v[20:21], v[16:17], v[26:27], v[20:21]
	v_mul_f64 v[16:17], v[16:17], v[28:29]
	v_fma_f64 v[22:23], v[18:19], v[26:27], -v[16:17]
	v_mov_b32_e32 v16, s5
	v_addc_co_u32_e32 v25, vcc, v25, v16, vcc
	ds_write_b128 v196, v[20:23] offset:34496
	global_load_dwordx4 v[16:19], v[24:25], off
	global_load_dwordx4 v[26:29], v196, s[8:9] offset:2352
	v_add_co_u32_e32 v24, vcc, s3, v24
	s_waitcnt vmcnt(0)
	buffer_store_dword v26, off, s[40:43], 0 offset:684 ; 4-byte Folded Spill
	s_nop 0
	buffer_store_dword v27, off, s[40:43], 0 offset:688 ; 4-byte Folded Spill
	buffer_store_dword v28, off, s[40:43], 0 offset:692 ; 4-byte Folded Spill
	buffer_store_dword v29, off, s[40:43], 0 offset:696 ; 4-byte Folded Spill
	v_mul_f64 v[20:21], v[18:19], v[28:29]
	v_fma_f64 v[20:21], v[16:17], v[26:27], v[20:21]
	v_mul_f64 v[16:17], v[16:17], v[28:29]
	v_fma_f64 v[22:23], v[18:19], v[26:27], -v[16:17]
	v_mov_b32_e32 v16, s2
	v_addc_co_u32_e32 v25, vcc, v25, v16, vcc
	ds_write_b128 v196, v[20:23] offset:2352
	global_load_dwordx4 v[16:19], v[24:25], off
	global_load_dwordx4 v[26:29], v[8:9], off offset:3744
	v_add_co_u32_e32 v24, vcc, s3, v24
	s_waitcnt vmcnt(0)
	buffer_store_dword v26, off, s[40:43], 0 offset:668 ; 4-byte Folded Spill
	s_nop 0
	buffer_store_dword v27, off, s[40:43], 0 offset:672 ; 4-byte Folded Spill
	buffer_store_dword v28, off, s[40:43], 0 offset:676 ; 4-byte Folded Spill
	buffer_store_dword v29, off, s[40:43], 0 offset:680 ; 4-byte Folded Spill
	v_mul_f64 v[20:21], v[18:19], v[28:29]
	v_fma_f64 v[20:21], v[16:17], v[26:27], v[20:21]
	v_mul_f64 v[16:17], v[16:17], v[28:29]
	v_fma_f64 v[22:23], v[18:19], v[26:27], -v[16:17]
	v_mov_b32_e32 v16, s2
	v_addc_co_u32_e32 v25, vcc, v25, v16, vcc
	ds_write_b128 v196, v[20:23] offset:7840
	global_load_dwordx4 v[16:19], v[24:25], off
	global_load_dwordx4 v[26:29], v[14:15], off offset:1040
	;; [unrolled: 16-line block ×5, first 2 shown]
	v_add_co_u32_e32 v24, vcc, s3, v24
	s_waitcnt vmcnt(0)
	buffer_store_dword v26, off, s[40:43], 0 offset:492 ; 4-byte Folded Spill
	s_nop 0
	buffer_store_dword v27, off, s[40:43], 0 offset:496 ; 4-byte Folded Spill
	buffer_store_dword v28, off, s[40:43], 0 offset:500 ; 4-byte Folded Spill
	buffer_store_dword v29, off, s[40:43], 0 offset:504 ; 4-byte Folded Spill
	v_mul_f64 v[20:21], v[18:19], v[28:29]
	v_fma_f64 v[20:21], v[16:17], v[26:27], v[20:21]
	v_mul_f64 v[16:17], v[16:17], v[28:29]
	v_fma_f64 v[22:23], v[18:19], v[26:27], -v[16:17]
	v_mov_b32_e32 v16, s2
	v_addc_co_u32_e32 v25, vcc, v25, v16, vcc
	v_add_co_u32_e32 v218, vcc, s6, v214
	s_movk_i32 s6, 0xf5
	ds_write_b128 v196, v[20:23] offset:29792
	global_load_dwordx4 v[16:19], v[24:25], off
	global_load_dwordx4 v[26:29], v[2:3], off offset:2512
	v_add_co_u32_e32 v24, vcc, s4, v24
	s_waitcnt vmcnt(0)
	buffer_store_dword v26, off, s[40:43], 0 offset:460 ; 4-byte Folded Spill
	s_nop 0
	buffer_store_dword v27, off, s[40:43], 0 offset:464 ; 4-byte Folded Spill
	buffer_store_dword v28, off, s[40:43], 0 offset:468 ; 4-byte Folded Spill
	;; [unrolled: 1-line block ×3, first 2 shown]
	v_mul_f64 v[20:21], v[18:19], v[28:29]
	v_fma_f64 v[20:21], v[16:17], v[26:27], v[20:21]
	v_mul_f64 v[16:17], v[16:17], v[28:29]
	v_fma_f64 v[22:23], v[18:19], v[26:27], -v[16:17]
	v_mov_b32_e32 v16, s5
	v_addc_co_u32_e32 v25, vcc, v25, v16, vcc
	ds_write_b128 v196, v[20:23] offset:35280
	global_load_dwordx4 v[16:19], v[24:25], off
	global_load_dwordx4 v[26:29], v196, s[8:9] offset:3136
	v_add_co_u32_e32 v24, vcc, s3, v24
	s_waitcnt vmcnt(0)
	buffer_store_dword v26, off, s[40:43], 0 offset:444 ; 4-byte Folded Spill
	s_nop 0
	buffer_store_dword v27, off, s[40:43], 0 offset:448 ; 4-byte Folded Spill
	buffer_store_dword v28, off, s[40:43], 0 offset:452 ; 4-byte Folded Spill
	buffer_store_dword v29, off, s[40:43], 0 offset:456 ; 4-byte Folded Spill
	v_mul_f64 v[20:21], v[18:19], v[28:29]
	v_fma_f64 v[20:21], v[16:17], v[26:27], v[20:21]
	v_mul_f64 v[16:17], v[16:17], v[28:29]
	v_fma_f64 v[22:23], v[18:19], v[26:27], -v[16:17]
	v_mov_b32_e32 v16, s2
	v_addc_co_u32_e32 v25, vcc, v25, v16, vcc
	ds_write_b128 v196, v[20:23] offset:3136
	global_load_dwordx4 v[16:19], v[24:25], off
	global_load_dwordx4 v[26:29], v[10:11], off offset:432
	v_add_co_u32_e32 v24, vcc, s3, v24
	s_waitcnt vmcnt(0)
	buffer_store_dword v26, off, s[40:43], 0 offset:412 ; 4-byte Folded Spill
	s_nop 0
	buffer_store_dword v27, off, s[40:43], 0 offset:416 ; 4-byte Folded Spill
	buffer_store_dword v28, off, s[40:43], 0 offset:420 ; 4-byte Folded Spill
	buffer_store_dword v29, off, s[40:43], 0 offset:424 ; 4-byte Folded Spill
	v_mul_f64 v[20:21], v[18:19], v[28:29]
	v_fma_f64 v[20:21], v[16:17], v[26:27], v[20:21]
	v_mul_f64 v[16:17], v[16:17], v[28:29]
	v_fma_f64 v[22:23], v[18:19], v[26:27], -v[16:17]
	v_mov_b32_e32 v16, s2
	v_addc_co_u32_e32 v25, vcc, v25, v16, vcc
	ds_write_b128 v196, v[20:23] offset:8624
	global_load_dwordx4 v[16:19], v[24:25], off
	global_load_dwordx4 v[26:29], v[14:15], off offset:1824
	v_add_co_u32_e32 v24, vcc, s3, v24
	s_waitcnt vmcnt(0)
	buffer_store_dword v26, off, s[40:43], 0 offset:380 ; 4-byte Folded Spill
	s_nop 0
	buffer_store_dword v27, off, s[40:43], 0 offset:384 ; 4-byte Folded Spill
	buffer_store_dword v28, off, s[40:43], 0 offset:388 ; 4-byte Folded Spill
	buffer_store_dword v29, off, s[40:43], 0 offset:392 ; 4-byte Folded Spill
	v_mul_f64 v[20:21], v[18:19], v[28:29]
	v_fma_f64 v[20:21], v[16:17], v[26:27], v[20:21]
	v_mul_f64 v[16:17], v[16:17], v[28:29]
	v_fma_f64 v[22:23], v[18:19], v[26:27], -v[16:17]
	v_mov_b32_e32 v16, s2
	v_addc_co_u32_e32 v25, vcc, v25, v16, vcc
	ds_write_b128 v196, v[20:23] offset:14112
	global_load_dwordx4 v[16:19], v[24:25], off
	global_load_dwordx4 v[26:29], v[0:1], off offset:3216
	v_add_co_u32_e32 v24, vcc, s3, v24
	s_waitcnt vmcnt(0)
	buffer_store_dword v26, off, s[40:43], 0 offset:348 ; 4-byte Folded Spill
	s_nop 0
	buffer_store_dword v27, off, s[40:43], 0 offset:352 ; 4-byte Folded Spill
	buffer_store_dword v28, off, s[40:43], 0 offset:356 ; 4-byte Folded Spill
	buffer_store_dword v29, off, s[40:43], 0 offset:360 ; 4-byte Folded Spill
	v_mul_f64 v[20:21], v[18:19], v[28:29]
	v_fma_f64 v[20:21], v[16:17], v[26:27], v[20:21]
	v_mul_f64 v[16:17], v[16:17], v[28:29]
	v_fma_f64 v[22:23], v[18:19], v[26:27], -v[16:17]
	v_mov_b32_e32 v16, s2
	v_addc_co_u32_e32 v25, vcc, v25, v16, vcc
	ds_write_b128 v196, v[20:23] offset:19600
	global_load_dwordx4 v[16:19], v[24:25], off
	global_load_dwordx4 v[26:29], v[4:5], off offset:512
	v_add_co_u32_e32 v24, vcc, s3, v24
	s_waitcnt vmcnt(0)
	buffer_store_dword v26, off, s[40:43], 0 offset:284 ; 4-byte Folded Spill
	s_nop 0
	buffer_store_dword v27, off, s[40:43], 0 offset:288 ; 4-byte Folded Spill
	buffer_store_dword v28, off, s[40:43], 0 offset:292 ; 4-byte Folded Spill
	buffer_store_dword v29, off, s[40:43], 0 offset:296 ; 4-byte Folded Spill
	v_mul_f64 v[20:21], v[18:19], v[28:29]
	v_fma_f64 v[20:21], v[16:17], v[26:27], v[20:21]
	v_mul_f64 v[16:17], v[16:17], v[28:29]
	v_fma_f64 v[22:23], v[18:19], v[26:27], -v[16:17]
	v_mov_b32_e32 v16, s2
	v_addc_co_u32_e32 v25, vcc, v25, v16, vcc
	ds_write_b128 v196, v[20:23] offset:25088
	global_load_dwordx4 v[16:19], v[24:25], off
	global_load_dwordx4 v[26:29], v[12:13], off offset:1904
	v_add_co_u32_e32 v24, vcc, s3, v24
	s_waitcnt vmcnt(0)
	buffer_store_dword v26, off, s[40:43], 0 offset:332 ; 4-byte Folded Spill
	s_nop 0
	buffer_store_dword v27, off, s[40:43], 0 offset:336 ; 4-byte Folded Spill
	buffer_store_dword v28, off, s[40:43], 0 offset:340 ; 4-byte Folded Spill
	;; [unrolled: 1-line block ×3, first 2 shown]
	v_mul_f64 v[20:21], v[18:19], v[28:29]
	v_fma_f64 v[20:21], v[16:17], v[26:27], v[20:21]
	v_mul_f64 v[16:17], v[16:17], v[28:29]
	v_fma_f64 v[22:23], v[18:19], v[26:27], -v[16:17]
	v_mov_b32_e32 v16, s2
	v_addc_co_u32_e32 v25, vcc, v25, v16, vcc
	v_add_co_u32_e32 v219, vcc, s6, v214
	s_movk_i32 s6, 0x126
	ds_write_b128 v196, v[20:23] offset:30576
	global_load_dwordx4 v[16:19], v[24:25], off
	global_load_dwordx4 v[26:29], v[2:3], off offset:3296
	s_waitcnt vmcnt(0)
	buffer_store_dword v26, off, s[40:43], 0 offset:300 ; 4-byte Folded Spill
	s_nop 0
	buffer_store_dword v27, off, s[40:43], 0 offset:304 ; 4-byte Folded Spill
	buffer_store_dword v28, off, s[40:43], 0 offset:308 ; 4-byte Folded Spill
	;; [unrolled: 1-line block ×3, first 2 shown]
	v_add_co_u32_e32 v24, vcc, s4, v24
	v_mul_f64 v[20:21], v[18:19], v[28:29]
	v_fma_f64 v[20:21], v[16:17], v[26:27], v[20:21]
	v_mul_f64 v[16:17], v[16:17], v[28:29]
	v_fma_f64 v[22:23], v[18:19], v[26:27], -v[16:17]
	v_mov_b32_e32 v16, s5
	v_addc_co_u32_e32 v25, vcc, v25, v16, vcc
	ds_write_b128 v196, v[20:23] offset:36064
	global_load_dwordx4 v[16:19], v[24:25], off
	global_load_dwordx4 v[26:29], v196, s[8:9] offset:3920
	s_waitcnt vmcnt(0)
	buffer_store_dword v26, off, s[40:43], 0 offset:252 ; 4-byte Folded Spill
	s_nop 0
	buffer_store_dword v27, off, s[40:43], 0 offset:256 ; 4-byte Folded Spill
	buffer_store_dword v28, off, s[40:43], 0 offset:260 ; 4-byte Folded Spill
	;; [unrolled: 1-line block ×3, first 2 shown]
	v_add_co_u32_e32 v24, vcc, s3, v24
	s_mov_b32 s8, 0xb247c609
	s_mov_b32 s9, 0x3fd5d0dc
	;; [unrolled: 1-line block ×3, first 2 shown]
	v_mul_f64 v[20:21], v[18:19], v[28:29]
	v_fma_f64 v[20:21], v[16:17], v[26:27], v[20:21]
	v_mul_f64 v[16:17], v[16:17], v[28:29]
	v_fma_f64 v[22:23], v[18:19], v[26:27], -v[16:17]
	v_mov_b32_e32 v16, s2
	v_addc_co_u32_e32 v25, vcc, v25, v16, vcc
	ds_write_b128 v196, v[20:23] offset:3920
	global_load_dwordx4 v[16:19], v[24:25], off
	global_load_dwordx4 v[26:29], v[10:11], off offset:1216
	s_waitcnt vmcnt(0)
	buffer_store_dword v26, off, s[40:43], 0 offset:236 ; 4-byte Folded Spill
	s_nop 0
	buffer_store_dword v27, off, s[40:43], 0 offset:240 ; 4-byte Folded Spill
	buffer_store_dword v28, off, s[40:43], 0 offset:244 ; 4-byte Folded Spill
	;; [unrolled: 1-line block ×3, first 2 shown]
	v_add_co_u32_e32 v24, vcc, s3, v24
	v_mul_f64 v[20:21], v[18:19], v[28:29]
	v_fma_f64 v[20:21], v[16:17], v[26:27], v[20:21]
	v_mul_f64 v[16:17], v[16:17], v[28:29]
	v_fma_f64 v[22:23], v[18:19], v[26:27], -v[16:17]
	v_mov_b32_e32 v16, s2
	v_addc_co_u32_e32 v25, vcc, v25, v16, vcc
	ds_write_b128 v196, v[20:23] offset:9408
	global_load_dwordx4 v[16:19], v[24:25], off
	global_load_dwordx4 v[26:29], v[14:15], off offset:2608
	s_waitcnt vmcnt(0)
	buffer_store_dword v26, off, s[40:43], 0 offset:268 ; 4-byte Folded Spill
	s_nop 0
	buffer_store_dword v27, off, s[40:43], 0 offset:272 ; 4-byte Folded Spill
	buffer_store_dword v28, off, s[40:43], 0 offset:276 ; 4-byte Folded Spill
	buffer_store_dword v29, off, s[40:43], 0 offset:280 ; 4-byte Folded Spill
	v_add_co_u32_e32 v24, vcc, s3, v24
	v_mul_f64 v[20:21], v[18:19], v[28:29]
	v_fma_f64 v[20:21], v[16:17], v[26:27], v[20:21]
	v_mul_f64 v[16:17], v[16:17], v[28:29]
	v_fma_f64 v[22:23], v[18:19], v[26:27], -v[16:17]
	v_mov_b32_e32 v16, s2
	v_addc_co_u32_e32 v25, vcc, v25, v16, vcc
	ds_write_b128 v196, v[20:23] offset:14896
	global_load_dwordx4 v[16:19], v[24:25], off
	global_load_dwordx4 v[26:29], v[0:1], off offset:4000
	s_waitcnt vmcnt(0)
	buffer_store_dword v26, off, s[40:43], 0 offset:204 ; 4-byte Folded Spill
	s_nop 0
	buffer_store_dword v27, off, s[40:43], 0 offset:208 ; 4-byte Folded Spill
	buffer_store_dword v28, off, s[40:43], 0 offset:212 ; 4-byte Folded Spill
	;; [unrolled: 1-line block ×3, first 2 shown]
	v_mul_f64 v[0:1], v[18:19], v[28:29]
	v_fma_f64 v[20:21], v[16:17], v[26:27], v[0:1]
	v_mul_f64 v[0:1], v[16:17], v[28:29]
	v_fma_f64 v[22:23], v[18:19], v[26:27], -v[0:1]
	v_add_co_u32_e32 v0, vcc, s3, v24
	v_mov_b32_e32 v1, s2
	v_addc_co_u32_e32 v1, vcc, v25, v1, vcc
	ds_write_b128 v196, v[20:23] offset:20384
	global_load_dwordx4 v[16:19], v[0:1], off
	global_load_dwordx4 v[22:25], v[4:5], off offset:1296
	s_waitcnt vmcnt(0)
	buffer_store_dword v22, off, s[40:43], 0 offset:172 ; 4-byte Folded Spill
	s_nop 0
	buffer_store_dword v23, off, s[40:43], 0 offset:176 ; 4-byte Folded Spill
	buffer_store_dword v24, off, s[40:43], 0 offset:180 ; 4-byte Folded Spill
	;; [unrolled: 1-line block ×3, first 2 shown]
	v_add_co_u32_e32 v0, vcc, s3, v0
	v_mul_f64 v[20:21], v[18:19], v[24:25]
	v_fma_f64 v[20:21], v[16:17], v[22:23], v[20:21]
	v_mul_f64 v[16:17], v[16:17], v[24:25]
	v_fma_f64 v[22:23], v[18:19], v[22:23], -v[16:17]
	v_mov_b32_e32 v16, s2
	v_addc_co_u32_e32 v1, vcc, v1, v16, vcc
	ds_write_b128 v196, v[20:23] offset:25872
	global_load_dwordx4 v[16:19], v[0:1], off
	global_load_dwordx4 v[22:25], v[12:13], off offset:2688
	s_waitcnt vmcnt(0)
	buffer_store_dword v22, off, s[40:43], 0 offset:156 ; 4-byte Folded Spill
	s_nop 0
	buffer_store_dword v23, off, s[40:43], 0 offset:160 ; 4-byte Folded Spill
	buffer_store_dword v24, off, s[40:43], 0 offset:164 ; 4-byte Folded Spill
	;; [unrolled: 1-line block ×3, first 2 shown]
	v_mul_f64 v[20:21], v[18:19], v[24:25]
	v_fma_f64 v[20:21], v[16:17], v[22:23], v[20:21]
	v_mul_f64 v[16:17], v[16:17], v[24:25]
	v_fma_f64 v[22:23], v[18:19], v[22:23], -v[16:17]
	ds_write_b128 v196, v[20:23] offset:31360
	v_add_co_u32_e32 v20, vcc, s3, v0
	v_mov_b32_e32 v0, s2
	v_addc_co_u32_e32 v21, vcc, v1, v0, vcc
	global_load_dwordx4 v[16:19], v[20:21], off
	global_load_dwordx4 v[22:25], v[2:3], off offset:4080
	s_waitcnt vmcnt(0)
	buffer_store_dword v22, off, s[40:43], 0 offset:140 ; 4-byte Folded Spill
	s_nop 0
	buffer_store_dword v23, off, s[40:43], 0 offset:144 ; 4-byte Folded Spill
	buffer_store_dword v24, off, s[40:43], 0 offset:148 ; 4-byte Folded Spill
	;; [unrolled: 1-line block ×3, first 2 shown]
	v_add_co_u32_e32 v220, vcc, s6, v214
	s_mov_b32 s6, 0x36b3c0b5
	s_mov_b32 s7, 0x3fac98ee
	v_mul_f64 v[0:1], v[18:19], v[24:25]
	v_mul_f64 v[2:3], v[16:17], v[24:25]
	v_fma_f64 v[0:1], v[16:17], v[22:23], v[0:1]
	v_fma_f64 v[2:3], v[18:19], v[22:23], -v[2:3]
	v_add_co_u32_e32 v16, vcc, s4, v20
	ds_write_b128 v196, v[0:3] offset:36848
	v_mov_b32_e32 v0, s5
	v_addc_co_u32_e32 v17, vcc, v21, v0, vcc
	global_load_dwordx4 v[0:3], v[16:17], off
	global_load_dwordx4 v[20:23], v[8:9], off offset:608
	s_waitcnt vmcnt(0)
	buffer_store_dword v20, off, s[40:43], 0 offset:700 ; 4-byte Folded Spill
	s_nop 0
	buffer_store_dword v21, off, s[40:43], 0 offset:704 ; 4-byte Folded Spill
	buffer_store_dword v22, off, s[40:43], 0 offset:708 ; 4-byte Folded Spill
	;; [unrolled: 1-line block ×3, first 2 shown]
	v_add_co_u32_e32 v16, vcc, s3, v16
	s_mov_b32 s4, 0x429ad128
	s_mov_b32 s5, 0xbfebfeb5
	;; [unrolled: 1-line block ×3, first 2 shown]
	v_mul_f64 v[8:9], v[2:3], v[22:23]
	v_fma_f64 v[18:19], v[0:1], v[20:21], v[8:9]
	v_mul_f64 v[0:1], v[0:1], v[22:23]
	v_fma_f64 v[20:21], v[2:3], v[20:21], -v[0:1]
	v_mov_b32_e32 v0, s2
	v_addc_co_u32_e32 v17, vcc, v17, v0, vcc
	ds_write_b128 v196, v[18:21] offset:4704
	global_load_dwordx4 v[0:3], v[16:17], off
	global_load_dwordx4 v[18:21], v[10:11], off offset:2000
	s_waitcnt vmcnt(0)
	buffer_store_dword v18, off, s[40:43], 0 offset:732 ; 4-byte Folded Spill
	s_nop 0
	buffer_store_dword v19, off, s[40:43], 0 offset:736 ; 4-byte Folded Spill
	buffer_store_dword v20, off, s[40:43], 0 offset:740 ; 4-byte Folded Spill
	buffer_store_dword v21, off, s[40:43], 0 offset:744 ; 4-byte Folded Spill
	v_add_co_u32_e32 v16, vcc, s3, v16
	v_mul_f64 v[8:9], v[2:3], v[20:21]
	v_fma_f64 v[8:9], v[0:1], v[18:19], v[8:9]
	v_mul_f64 v[0:1], v[0:1], v[20:21]
	v_fma_f64 v[10:11], v[2:3], v[18:19], -v[0:1]
	v_mov_b32_e32 v0, s2
	v_addc_co_u32_e32 v17, vcc, v17, v0, vcc
	ds_write_b128 v196, v[8:11] offset:10192
	global_load_dwordx4 v[0:3], v[16:17], off
	global_load_dwordx4 v[18:21], v[14:15], off offset:3392
	s_waitcnt vmcnt(0)
	buffer_store_dword v18, off, s[40:43], 0 offset:716 ; 4-byte Folded Spill
	s_nop 0
	buffer_store_dword v19, off, s[40:43], 0 offset:720 ; 4-byte Folded Spill
	buffer_store_dword v20, off, s[40:43], 0 offset:724 ; 4-byte Folded Spill
	;; [unrolled: 1-line block ×3, first 2 shown]
	v_mul_f64 v[8:9], v[2:3], v[20:21]
	v_fma_f64 v[8:9], v[0:1], v[18:19], v[8:9]
	v_mul_f64 v[0:1], v[0:1], v[20:21]
	v_fma_f64 v[10:11], v[2:3], v[18:19], -v[0:1]
	v_mov_b32_e32 v0, s2
	ds_write_b128 v196, v[8:11] offset:15680
	v_add_co_u32_e32 v10, vcc, s3, v16
	v_addc_co_u32_e32 v11, vcc, v17, v0, vcc
	global_load_dwordx4 v[0:3], v[10:11], off
	global_load_dwordx4 v[14:17], v[6:7], off offset:688
	s_waitcnt vmcnt(0)
	buffer_store_dword v14, off, s[40:43], 0 offset:748 ; 4-byte Folded Spill
	s_nop 0
	buffer_store_dword v15, off, s[40:43], 0 offset:752 ; 4-byte Folded Spill
	buffer_store_dword v16, off, s[40:43], 0 offset:756 ; 4-byte Folded Spill
	;; [unrolled: 1-line block ×3, first 2 shown]
	v_mul_f64 v[6:7], v[2:3], v[16:17]
	v_fma_f64 v[6:7], v[0:1], v[14:15], v[6:7]
	v_mul_f64 v[0:1], v[0:1], v[16:17]
	v_fma_f64 v[8:9], v[2:3], v[14:15], -v[0:1]
	v_mov_b32_e32 v0, s2
	ds_write_b128 v196, v[6:9] offset:21168
	v_add_co_u32_e32 v8, vcc, s3, v10
	v_addc_co_u32_e32 v9, vcc, v11, v0, vcc
	global_load_dwordx4 v[0:3], v[8:9], off
	global_load_dwordx4 v[14:17], v[4:5], off offset:2080
	v_add_co_u32_e32 v8, vcc, s3, v8
	s_waitcnt vmcnt(0)
	v_mul_f64 v[4:5], v[2:3], v[16:17]
	v_fma_f64 v[4:5], v[0:1], v[14:15], v[4:5]
	v_mul_f64 v[0:1], v[0:1], v[16:17]
	buffer_store_dword v14, off, s[40:43], 0 offset:764 ; 4-byte Folded Spill
	s_nop 0
	buffer_store_dword v15, off, s[40:43], 0 offset:768 ; 4-byte Folded Spill
	buffer_store_dword v16, off, s[40:43], 0 offset:772 ; 4-byte Folded Spill
	;; [unrolled: 1-line block ×3, first 2 shown]
	v_fma_f64 v[6:7], v[2:3], v[14:15], -v[0:1]
	v_mov_b32_e32 v0, s2
	v_addc_co_u32_e32 v9, vcc, v9, v0, vcc
	ds_write_b128 v196, v[4:7] offset:26656
	global_load_dwordx4 v[0:3], v[8:9], off
	s_nop 0
	global_load_dwordx4 v[10:13], v[12:13], off offset:3472
	s_waitcnt vmcnt(0)
	buffer_store_dword v10, off, s[40:43], 0 offset:780 ; 4-byte Folded Spill
	s_nop 0
	buffer_store_dword v11, off, s[40:43], 0 offset:784 ; 4-byte Folded Spill
	buffer_store_dword v12, off, s[40:43], 0 offset:788 ; 4-byte Folded Spill
	;; [unrolled: 1-line block ×3, first 2 shown]
	v_mul_f64 v[4:5], v[2:3], v[12:13]
	v_fma_f64 v[4:5], v[0:1], v[10:11], v[4:5]
	v_mul_f64 v[0:1], v[0:1], v[12:13]
	v_fma_f64 v[6:7], v[2:3], v[10:11], -v[0:1]
	v_add_co_u32_e32 v0, vcc, s3, v8
	v_mov_b32_e32 v1, s2
	v_addc_co_u32_e32 v1, vcc, v9, v1, vcc
	s_mov_b32 s2, 0x9000
	global_load_dwordx4 v[0:3], v[0:1], off
	ds_write_b128 v196, v[4:7] offset:32144
	v_add_co_u32_e32 v4, vcc, s2, v30
	v_addc_co_u32_e32 v5, vcc, 0, v31, vcc
	buffer_store_dword v4, off, s[40:43], 0 offset:2844 ; 4-byte Folded Spill
	s_nop 0
	buffer_store_dword v5, off, s[40:43], 0 offset:2848 ; 4-byte Folded Spill
	s_mov_b32 s3, 0x3fdc38aa
	s_mov_b32 s2, 0x37c3f68c
	global_load_dwordx4 v[4:7], v[4:5], off offset:768
	s_waitcnt vmcnt(0)
	v_mov_b32_e32 v9, v7
	v_mov_b32_e32 v8, v6
	;; [unrolled: 1-line block ×4, first 2 shown]
	v_mul_f64 v[4:5], v[2:3], v[8:9]
	v_fma_f64 v[4:5], v[0:1], v[6:7], v[4:5]
	v_mul_f64 v[0:1], v[0:1], v[8:9]
	buffer_store_dword v6, off, s[40:43], 0 offset:4 ; 4-byte Folded Spill
	s_nop 0
	buffer_store_dword v7, off, s[40:43], 0 offset:8 ; 4-byte Folded Spill
	buffer_store_dword v8, off, s[40:43], 0 offset:12 ; 4-byte Folded Spill
	;; [unrolled: 1-line block ×3, first 2 shown]
	v_fma_f64 v[6:7], v[2:3], v[6:7], -v[0:1]
	ds_write_b128 v196, v[4:7] offset:37632
	s_waitcnt lgkmcnt(0)
	; wave barrier
	s_waitcnt lgkmcnt(0)
	ds_read_b128 v[4:7], v196
	ds_read_b128 v[24:27], v196 offset:5488
	ds_read_b128 v[16:19], v196 offset:10976
	ds_read_b128 v[8:11], v196 offset:16464
	ds_read_b128 v[12:15], v196 offset:21952
	ds_read_b128 v[20:23], v196 offset:27440
	ds_read_b128 v[28:31], v196 offset:32928
	ds_read_b128 v[32:35], v196 offset:784
	ds_read_b128 v[52:55], v196 offset:6272
	ds_read_b128 v[44:47], v196 offset:11760
	ds_read_b128 v[36:39], v196 offset:17248
	ds_read_b128 v[40:43], v196 offset:22736
	ds_read_b128 v[48:51], v196 offset:28224
	ds_read_b128 v[56:59], v196 offset:33712
	ds_read_b128 v[60:63], v196 offset:1568
	ds_read_b128 v[80:83], v196 offset:7056
	ds_read_b128 v[72:75], v196 offset:12544
	ds_read_b128 v[64:67], v196 offset:18032
	ds_read_b128 v[68:71], v196 offset:23520
	ds_read_b128 v[76:79], v196 offset:29008
	ds_read_b128 v[84:87], v196 offset:34496
	ds_read_b128 v[88:91], v196 offset:2352
	ds_read_b128 v[108:111], v196 offset:7840
	ds_read_b128 v[100:103], v196 offset:13328
	ds_read_b128 v[92:95], v196 offset:18816
	ds_read_b128 v[96:99], v196 offset:24304
	ds_read_b128 v[104:107], v196 offset:29792
	ds_read_b128 v[112:115], v196 offset:35280
	ds_read_b128 v[140:143], v196 offset:3136
	ds_read_b128 v[160:163], v196 offset:8624
	ds_read_b128 v[152:155], v196 offset:14112
	ds_read_b128 v[144:147], v196 offset:19600
	ds_read_b128 v[148:151], v196 offset:25088
	ds_read_b128 v[156:159], v196 offset:30576
	ds_read_b128 v[164:167], v196 offset:36064
	ds_read_b128 v[168:171], v196 offset:3920
	ds_read_b128 v[188:191], v196 offset:9408
	ds_read_b128 v[180:183], v196 offset:14896
	ds_read_b128 v[172:175], v196 offset:20384
	ds_read_b128 v[176:179], v196 offset:25872
	ds_read_b128 v[184:187], v196 offset:31360
	ds_read_b128 v[192:195], v196 offset:36848
	ds_read_b128 v[0:3], v196 offset:4704
	ds_read_b128 v[132:135], v196 offset:10192
	ds_read_b128 v[124:127], v196 offset:15680
	ds_read_b128 v[116:119], v196 offset:21168
	ds_read_b128 v[120:123], v196 offset:26656
	ds_read_b128 v[128:131], v196 offset:32144
	ds_read_b128 v[136:139], v196 offset:37632
	s_waitcnt lgkmcnt(14)
	v_add_f64 v[200:201], v[26:27], v[30:31]
	v_add_f64 v[26:27], v[26:27], -v[30:31]
	v_add_f64 v[30:31], v[18:19], v[22:23]
	v_add_f64 v[198:199], v[24:25], v[28:29]
	v_add_f64 v[24:25], v[24:25], -v[28:29]
	v_add_f64 v[28:29], v[16:17], v[20:21]
	v_add_f64 v[16:17], v[16:17], -v[20:21]
	v_add_f64 v[18:19], v[18:19], -v[22:23]
	v_add_f64 v[20:21], v[8:9], v[12:13]
	v_add_f64 v[22:23], v[10:11], v[14:15]
	v_add_f64 v[8:9], v[12:13], -v[8:9]
	v_add_f64 v[10:11], v[14:15], -v[10:11]
	v_add_f64 v[14:15], v[30:31], v[200:201]
	v_add_f64 v[12:13], v[28:29], v[198:199]
	v_add_f64 v[204:205], v[30:31], -v[200:201]
	v_add_f64 v[202:203], v[28:29], -v[198:199]
	;; [unrolled: 1-line block ×5, first 2 shown]
	v_add_f64 v[206:207], v[8:9], v[16:17]
	v_add_f64 v[208:209], v[10:11], v[18:19]
	v_add_f64 v[210:211], v[8:9], -v[16:17]
	v_add_f64 v[14:15], v[22:23], v[14:15]
	v_add_f64 v[28:29], v[20:21], -v[28:29]
	v_add_f64 v[212:213], v[10:11], -v[18:19]
	v_add_f64 v[12:13], v[20:21], v[12:13]
	v_add_f64 v[10:11], v[26:27], -v[10:11]
	v_add_f64 v[16:17], v[16:17], -v[24:25]
	;; [unrolled: 1-line block ×3, first 2 shown]
	v_add_f64 v[20:21], v[206:207], v[24:25]
	v_add_f64 v[22:23], v[208:209], v[26:27]
	;; [unrolled: 1-line block ×3, first 2 shown]
	v_mul_f64 v[26:27], v[200:201], s[26:27]
	v_mul_f64 v[200:201], v[30:31], s[6:7]
	;; [unrolled: 1-line block ×3, first 2 shown]
	v_add_f64 v[8:9], v[24:25], -v[8:9]
	v_add_f64 v[4:5], v[4:5], v[12:13]
	v_mul_f64 v[24:25], v[198:199], s[26:27]
	v_mul_f64 v[198:199], v[28:29], s[6:7]
	;; [unrolled: 1-line block ×5, first 2 shown]
	v_fma_f64 v[14:15], v[14:15], s[18:19], v[6:7]
	v_fma_f64 v[200:201], v[204:205], s[14:15], -v[200:201]
	v_fma_f64 v[16:17], v[16:17], s[24:25], -v[206:207]
	v_fma_f64 v[12:13], v[12:13], s[18:19], v[4:5]
	v_fma_f64 v[198:199], v[202:203], s[14:15], -v[198:199]
	v_fma_f64 v[18:19], v[18:19], s[24:25], -v[208:209]
	v_fma_f64 v[28:29], v[28:29], s[6:7], v[24:25]
	v_fma_f64 v[30:31], v[30:31], s[6:7], v[26:27]
	v_fma_f64 v[24:25], v[202:203], s[16:17], -v[24:25]
	v_fma_f64 v[26:27], v[204:205], s[16:17], -v[26:27]
	v_fma_f64 v[202:203], v[8:9], s[8:9], v[206:207]
	v_fma_f64 v[204:205], v[10:11], s[8:9], v[208:209]
	v_fma_f64 v[8:9], v[8:9], s[22:23], v[210:211]
	v_fma_f64 v[10:11], v[10:11], s[22:23], v[212:213]
	v_add_f64 v[200:201], v[200:201], v[14:15]
	v_fma_f64 v[210:211], v[20:21], s[2:3], v[16:17]
	v_add_f64 v[198:199], v[198:199], v[12:13]
	v_fma_f64 v[16:17], v[22:23], s[2:3], v[18:19]
	v_fma_f64 v[202:203], v[20:21], s[2:3], v[202:203]
	;; [unrolled: 1-line block ×5, first 2 shown]
	v_add_f64 v[206:207], v[28:29], v[12:13]
	v_add_f64 v[22:23], v[210:211], v[200:201]
	v_add_f64 v[18:19], v[200:201], -v[210:211]
	v_add_f64 v[200:201], v[54:55], v[58:59]
	v_add_f64 v[54:55], v[54:55], -v[58:59]
	;; [unrolled: 2-line block ×3, first 2 shown]
	v_add_f64 v[16:17], v[198:199], v[16:17]
	v_add_f64 v[198:199], v[52:53], v[56:57]
	v_add_f64 v[52:53], v[52:53], -v[56:57]
	v_add_f64 v[56:57], v[44:45], v[48:49]
	v_add_f64 v[208:209], v[30:31], v[14:15]
	;; [unrolled: 1-line block ×4, first 2 shown]
	v_add_f64 v[44:45], v[44:45], -v[48:49]
	v_add_f64 v[46:47], v[46:47], -v[50:51]
	v_add_f64 v[48:49], v[36:37], v[40:41]
	v_add_f64 v[50:51], v[38:39], v[42:43]
	v_add_f64 v[36:37], v[40:41], -v[36:37]
	v_add_f64 v[38:39], v[42:43], -v[38:39]
	v_add_f64 v[42:43], v[58:59], v[200:201]
	v_add_f64 v[40:41], v[56:57], v[198:199]
	;; [unrolled: 1-line block ×3, first 2 shown]
	v_add_f64 v[30:31], v[208:209], -v[202:203]
	v_add_f64 v[24:25], v[12:13], v[10:11]
	v_add_f64 v[26:27], v[14:15], -v[8:9]
	v_add_f64 v[12:13], v[12:13], -v[10:11]
	v_add_f64 v[14:15], v[8:9], v[14:15]
	v_add_f64 v[8:9], v[206:207], -v[204:205]
	v_add_f64 v[10:11], v[202:203], v[208:209]
	v_add_f64 v[204:205], v[58:59], -v[200:201]
	v_add_f64 v[200:201], v[200:201], -v[50:51]
	v_add_f64 v[58:59], v[50:51], -v[58:59]
	v_add_f64 v[206:207], v[36:37], v[44:45]
	v_add_f64 v[208:209], v[38:39], v[46:47]
	v_add_f64 v[210:211], v[36:37], -v[44:45]
	v_add_f64 v[42:43], v[50:51], v[42:43]
	v_add_f64 v[202:203], v[56:57], -v[198:199]
	v_add_f64 v[198:199], v[198:199], -v[48:49]
	;; [unrolled: 1-line block ×4, first 2 shown]
	v_add_f64 v[40:41], v[48:49], v[40:41]
	v_add_f64 v[38:39], v[54:55], -v[38:39]
	v_add_f64 v[44:45], v[44:45], -v[52:53]
	;; [unrolled: 1-line block ×3, first 2 shown]
	v_add_f64 v[48:49], v[206:207], v[52:53]
	v_add_f64 v[50:51], v[208:209], v[54:55]
	;; [unrolled: 1-line block ×3, first 2 shown]
	v_mul_f64 v[54:55], v[200:201], s[26:27]
	v_mul_f64 v[200:201], v[58:59], s[6:7]
	v_mul_f64 v[206:207], v[210:211], s[20:21]
	v_add_f64 v[36:37], v[52:53], -v[36:37]
	v_add_f64 v[32:33], v[32:33], v[40:41]
	v_mul_f64 v[52:53], v[198:199], s[26:27]
	v_mul_f64 v[198:199], v[56:57], s[6:7]
	;; [unrolled: 1-line block ×5, first 2 shown]
	v_fma_f64 v[42:43], v[42:43], s[18:19], v[34:35]
	v_fma_f64 v[200:201], v[204:205], s[14:15], -v[200:201]
	v_fma_f64 v[44:45], v[44:45], s[24:25], -v[206:207]
	v_fma_f64 v[40:41], v[40:41], s[18:19], v[32:33]
	v_fma_f64 v[198:199], v[202:203], s[14:15], -v[198:199]
	v_fma_f64 v[46:47], v[46:47], s[24:25], -v[208:209]
	v_fma_f64 v[56:57], v[56:57], s[6:7], v[52:53]
	v_fma_f64 v[58:59], v[58:59], s[6:7], v[54:55]
	v_fma_f64 v[52:53], v[202:203], s[16:17], -v[52:53]
	v_fma_f64 v[54:55], v[204:205], s[16:17], -v[54:55]
	v_fma_f64 v[202:203], v[36:37], s[8:9], v[206:207]
	v_fma_f64 v[204:205], v[38:39], s[8:9], v[208:209]
	;; [unrolled: 1-line block ×4, first 2 shown]
	v_add_f64 v[200:201], v[200:201], v[42:43]
	v_fma_f64 v[210:211], v[48:49], s[2:3], v[44:45]
	v_add_f64 v[198:199], v[198:199], v[40:41]
	v_fma_f64 v[44:45], v[50:51], s[2:3], v[46:47]
	v_fma_f64 v[202:203], v[48:49], s[2:3], v[202:203]
	;; [unrolled: 1-line block ×5, first 2 shown]
	v_add_f64 v[206:207], v[56:57], v[40:41]
	v_add_f64 v[50:51], v[210:211], v[200:201]
	v_add_f64 v[46:47], v[200:201], -v[210:211]
	v_add_f64 v[200:201], v[82:83], v[86:87]
	v_add_f64 v[82:83], v[82:83], -v[86:87]
	;; [unrolled: 2-line block ×3, first 2 shown]
	v_add_f64 v[44:45], v[198:199], v[44:45]
	v_add_f64 v[198:199], v[80:81], v[84:85]
	v_add_f64 v[80:81], v[80:81], -v[84:85]
	v_add_f64 v[84:85], v[72:73], v[76:77]
	v_add_f64 v[208:209], v[58:59], v[42:43]
	;; [unrolled: 1-line block ×4, first 2 shown]
	v_add_f64 v[72:73], v[72:73], -v[76:77]
	v_add_f64 v[74:75], v[74:75], -v[78:79]
	v_add_f64 v[76:77], v[64:65], v[68:69]
	v_add_f64 v[78:79], v[66:67], v[70:71]
	v_add_f64 v[64:65], v[68:69], -v[64:65]
	v_add_f64 v[66:67], v[70:71], -v[66:67]
	v_add_f64 v[70:71], v[86:87], v[200:201]
	v_add_f64 v[68:69], v[84:85], v[198:199]
	;; [unrolled: 1-line block ×3, first 2 shown]
	v_add_f64 v[58:59], v[208:209], -v[202:203]
	v_add_f64 v[52:53], v[40:41], v[38:39]
	v_add_f64 v[54:55], v[42:43], -v[36:37]
	v_add_f64 v[40:41], v[40:41], -v[38:39]
	v_add_f64 v[42:43], v[36:37], v[42:43]
	v_add_f64 v[36:37], v[206:207], -v[204:205]
	v_add_f64 v[38:39], v[202:203], v[208:209]
	v_add_f64 v[204:205], v[86:87], -v[200:201]
	v_add_f64 v[200:201], v[200:201], -v[78:79]
	;; [unrolled: 1-line block ×3, first 2 shown]
	v_add_f64 v[206:207], v[64:65], v[72:73]
	v_add_f64 v[208:209], v[66:67], v[74:75]
	v_add_f64 v[210:211], v[64:65], -v[72:73]
	v_add_f64 v[70:71], v[78:79], v[70:71]
	v_add_f64 v[202:203], v[84:85], -v[198:199]
	v_add_f64 v[198:199], v[198:199], -v[76:77]
	;; [unrolled: 1-line block ×4, first 2 shown]
	v_add_f64 v[68:69], v[76:77], v[68:69]
	v_add_f64 v[66:67], v[82:83], -v[66:67]
	v_add_f64 v[72:73], v[72:73], -v[80:81]
	;; [unrolled: 1-line block ×3, first 2 shown]
	v_add_f64 v[76:77], v[206:207], v[80:81]
	v_add_f64 v[78:79], v[208:209], v[82:83]
	;; [unrolled: 1-line block ×3, first 2 shown]
	v_mul_f64 v[82:83], v[200:201], s[26:27]
	v_mul_f64 v[200:201], v[86:87], s[6:7]
	v_mul_f64 v[206:207], v[210:211], s[20:21]
	v_add_f64 v[64:65], v[80:81], -v[64:65]
	v_add_f64 v[60:61], v[60:61], v[68:69]
	v_mul_f64 v[80:81], v[198:199], s[26:27]
	v_mul_f64 v[198:199], v[84:85], s[6:7]
	;; [unrolled: 1-line block ×5, first 2 shown]
	v_fma_f64 v[70:71], v[70:71], s[18:19], v[62:63]
	v_fma_f64 v[200:201], v[204:205], s[14:15], -v[200:201]
	v_fma_f64 v[72:73], v[72:73], s[24:25], -v[206:207]
	v_fma_f64 v[68:69], v[68:69], s[18:19], v[60:61]
	v_fma_f64 v[198:199], v[202:203], s[14:15], -v[198:199]
	v_fma_f64 v[74:75], v[74:75], s[24:25], -v[208:209]
	v_fma_f64 v[84:85], v[84:85], s[6:7], v[80:81]
	v_fma_f64 v[86:87], v[86:87], s[6:7], v[82:83]
	v_fma_f64 v[80:81], v[202:203], s[16:17], -v[80:81]
	v_fma_f64 v[82:83], v[204:205], s[16:17], -v[82:83]
	v_fma_f64 v[202:203], v[64:65], s[8:9], v[206:207]
	v_fma_f64 v[204:205], v[66:67], s[8:9], v[208:209]
	v_fma_f64 v[64:65], v[64:65], s[22:23], v[210:211]
	v_fma_f64 v[66:67], v[66:67], s[22:23], v[212:213]
	v_add_f64 v[200:201], v[200:201], v[70:71]
	v_fma_f64 v[210:211], v[76:77], s[2:3], v[72:73]
	v_add_f64 v[198:199], v[198:199], v[68:69]
	v_fma_f64 v[72:73], v[78:79], s[2:3], v[74:75]
	v_fma_f64 v[202:203], v[76:77], s[2:3], v[202:203]
	;; [unrolled: 1-line block ×5, first 2 shown]
	v_add_f64 v[206:207], v[84:85], v[68:69]
	v_add_f64 v[78:79], v[210:211], v[200:201]
	v_add_f64 v[74:75], v[200:201], -v[210:211]
	v_add_f64 v[200:201], v[110:111], v[114:115]
	v_add_f64 v[110:111], v[110:111], -v[114:115]
	;; [unrolled: 2-line block ×3, first 2 shown]
	v_add_f64 v[72:73], v[198:199], v[72:73]
	v_add_f64 v[198:199], v[108:109], v[112:113]
	v_add_f64 v[108:109], v[108:109], -v[112:113]
	v_add_f64 v[112:113], v[100:101], v[104:105]
	v_add_f64 v[208:209], v[86:87], v[70:71]
	;; [unrolled: 1-line block ×4, first 2 shown]
	v_add_f64 v[100:101], v[100:101], -v[104:105]
	v_add_f64 v[102:103], v[102:103], -v[106:107]
	v_add_f64 v[104:105], v[92:93], v[96:97]
	v_add_f64 v[106:107], v[94:95], v[98:99]
	v_add_f64 v[92:93], v[96:97], -v[92:93]
	v_add_f64 v[94:95], v[98:99], -v[94:95]
	v_add_f64 v[98:99], v[114:115], v[200:201]
	v_add_f64 v[96:97], v[112:113], v[198:199]
	;; [unrolled: 1-line block ×3, first 2 shown]
	v_add_f64 v[86:87], v[208:209], -v[202:203]
	v_add_f64 v[80:81], v[68:69], v[66:67]
	v_add_f64 v[82:83], v[70:71], -v[64:65]
	v_add_f64 v[68:69], v[68:69], -v[66:67]
	v_add_f64 v[70:71], v[64:65], v[70:71]
	v_add_f64 v[64:65], v[206:207], -v[204:205]
	v_add_f64 v[66:67], v[202:203], v[208:209]
	v_add_f64 v[204:205], v[114:115], -v[200:201]
	v_add_f64 v[200:201], v[200:201], -v[106:107]
	v_add_f64 v[114:115], v[106:107], -v[114:115]
	v_add_f64 v[206:207], v[92:93], v[100:101]
	v_add_f64 v[208:209], v[94:95], v[102:103]
	v_add_f64 v[210:211], v[92:93], -v[100:101]
	v_add_f64 v[98:99], v[106:107], v[98:99]
	v_add_f64 v[202:203], v[112:113], -v[198:199]
	v_add_f64 v[198:199], v[198:199], -v[104:105]
	v_add_f64 v[112:113], v[104:105], -v[112:113]
	v_add_f64 v[212:213], v[94:95], -v[102:103]
	v_add_f64 v[96:97], v[104:105], v[96:97]
	v_add_f64 v[94:95], v[110:111], -v[94:95]
	v_add_f64 v[100:101], v[100:101], -v[108:109]
	;; [unrolled: 1-line block ×3, first 2 shown]
	v_add_f64 v[104:105], v[206:207], v[108:109]
	v_add_f64 v[106:107], v[208:209], v[110:111]
	;; [unrolled: 1-line block ×3, first 2 shown]
	v_mul_f64 v[110:111], v[200:201], s[26:27]
	v_mul_f64 v[200:201], v[114:115], s[6:7]
	;; [unrolled: 1-line block ×3, first 2 shown]
	v_add_f64 v[92:93], v[108:109], -v[92:93]
	v_add_f64 v[88:89], v[88:89], v[96:97]
	v_mul_f64 v[108:109], v[198:199], s[26:27]
	v_mul_f64 v[198:199], v[112:113], s[6:7]
	;; [unrolled: 1-line block ×5, first 2 shown]
	v_fma_f64 v[98:99], v[98:99], s[18:19], v[90:91]
	v_fma_f64 v[200:201], v[204:205], s[14:15], -v[200:201]
	v_fma_f64 v[100:101], v[100:101], s[24:25], -v[206:207]
	v_fma_f64 v[96:97], v[96:97], s[18:19], v[88:89]
	v_fma_f64 v[198:199], v[202:203], s[14:15], -v[198:199]
	v_fma_f64 v[102:103], v[102:103], s[24:25], -v[208:209]
	v_fma_f64 v[112:113], v[112:113], s[6:7], v[108:109]
	v_fma_f64 v[114:115], v[114:115], s[6:7], v[110:111]
	v_fma_f64 v[108:109], v[202:203], s[16:17], -v[108:109]
	v_fma_f64 v[110:111], v[204:205], s[16:17], -v[110:111]
	v_fma_f64 v[202:203], v[92:93], s[8:9], v[206:207]
	v_fma_f64 v[204:205], v[94:95], s[8:9], v[208:209]
	;; [unrolled: 1-line block ×4, first 2 shown]
	v_add_f64 v[200:201], v[200:201], v[98:99]
	v_fma_f64 v[210:211], v[104:105], s[2:3], v[100:101]
	v_add_f64 v[198:199], v[198:199], v[96:97]
	v_fma_f64 v[100:101], v[106:107], s[2:3], v[102:103]
	v_fma_f64 v[202:203], v[104:105], s[2:3], v[202:203]
	;; [unrolled: 1-line block ×5, first 2 shown]
	v_add_f64 v[206:207], v[112:113], v[96:97]
	v_add_f64 v[106:107], v[210:211], v[200:201]
	v_add_f64 v[102:103], v[200:201], -v[210:211]
	v_add_f64 v[200:201], v[162:163], v[166:167]
	v_add_f64 v[162:163], v[162:163], -v[166:167]
	;; [unrolled: 2-line block ×3, first 2 shown]
	v_add_f64 v[100:101], v[198:199], v[100:101]
	v_add_f64 v[198:199], v[160:161], v[164:165]
	v_add_f64 v[160:161], v[160:161], -v[164:165]
	v_add_f64 v[164:165], v[152:153], v[156:157]
	v_add_f64 v[208:209], v[114:115], v[98:99]
	;; [unrolled: 1-line block ×4, first 2 shown]
	v_add_f64 v[152:153], v[152:153], -v[156:157]
	v_add_f64 v[154:155], v[154:155], -v[158:159]
	v_add_f64 v[156:157], v[144:145], v[148:149]
	v_add_f64 v[158:159], v[146:147], v[150:151]
	v_add_f64 v[144:145], v[148:149], -v[144:145]
	v_add_f64 v[146:147], v[150:151], -v[146:147]
	v_add_f64 v[150:151], v[166:167], v[200:201]
	v_add_f64 v[148:149], v[164:165], v[198:199]
	;; [unrolled: 1-line block ×3, first 2 shown]
	v_add_f64 v[114:115], v[208:209], -v[202:203]
	v_add_f64 v[108:109], v[96:97], v[94:95]
	v_add_f64 v[110:111], v[98:99], -v[92:93]
	v_add_f64 v[96:97], v[96:97], -v[94:95]
	v_add_f64 v[98:99], v[92:93], v[98:99]
	v_add_f64 v[92:93], v[206:207], -v[204:205]
	v_add_f64 v[94:95], v[202:203], v[208:209]
	v_add_f64 v[204:205], v[166:167], -v[200:201]
	v_add_f64 v[200:201], v[200:201], -v[158:159]
	;; [unrolled: 1-line block ×3, first 2 shown]
	v_add_f64 v[206:207], v[144:145], v[152:153]
	v_add_f64 v[208:209], v[146:147], v[154:155]
	v_add_f64 v[210:211], v[144:145], -v[152:153]
	v_add_f64 v[150:151], v[158:159], v[150:151]
	v_add_f64 v[202:203], v[164:165], -v[198:199]
	v_add_f64 v[198:199], v[198:199], -v[156:157]
	;; [unrolled: 1-line block ×4, first 2 shown]
	v_add_f64 v[148:149], v[156:157], v[148:149]
	v_add_f64 v[146:147], v[162:163], -v[146:147]
	v_add_f64 v[152:153], v[152:153], -v[160:161]
	;; [unrolled: 1-line block ×3, first 2 shown]
	v_add_f64 v[156:157], v[206:207], v[160:161]
	v_add_f64 v[158:159], v[208:209], v[162:163]
	;; [unrolled: 1-line block ×3, first 2 shown]
	v_mul_f64 v[162:163], v[200:201], s[26:27]
	v_mul_f64 v[200:201], v[166:167], s[6:7]
	;; [unrolled: 1-line block ×3, first 2 shown]
	v_add_f64 v[144:145], v[160:161], -v[144:145]
	v_add_f64 v[140:141], v[140:141], v[148:149]
	v_mul_f64 v[160:161], v[198:199], s[26:27]
	v_mul_f64 v[198:199], v[164:165], s[6:7]
	;; [unrolled: 1-line block ×5, first 2 shown]
	v_fma_f64 v[150:151], v[150:151], s[18:19], v[142:143]
	v_fma_f64 v[200:201], v[204:205], s[14:15], -v[200:201]
	v_fma_f64 v[152:153], v[152:153], s[24:25], -v[206:207]
	v_fma_f64 v[148:149], v[148:149], s[18:19], v[140:141]
	v_fma_f64 v[198:199], v[202:203], s[14:15], -v[198:199]
	v_fma_f64 v[154:155], v[154:155], s[24:25], -v[208:209]
	v_fma_f64 v[164:165], v[164:165], s[6:7], v[160:161]
	v_fma_f64 v[166:167], v[166:167], s[6:7], v[162:163]
	v_fma_f64 v[160:161], v[202:203], s[16:17], -v[160:161]
	v_fma_f64 v[162:163], v[204:205], s[16:17], -v[162:163]
	v_fma_f64 v[202:203], v[144:145], s[8:9], v[206:207]
	v_fma_f64 v[204:205], v[146:147], s[8:9], v[208:209]
	;; [unrolled: 1-line block ×4, first 2 shown]
	v_add_f64 v[200:201], v[200:201], v[150:151]
	v_fma_f64 v[210:211], v[156:157], s[2:3], v[152:153]
	v_add_f64 v[198:199], v[198:199], v[148:149]
	v_fma_f64 v[152:153], v[158:159], s[2:3], v[154:155]
	v_fma_f64 v[202:203], v[156:157], s[2:3], v[202:203]
	;; [unrolled: 1-line block ×5, first 2 shown]
	v_add_f64 v[206:207], v[164:165], v[148:149]
	v_add_f64 v[158:159], v[210:211], v[200:201]
	v_add_f64 v[154:155], v[200:201], -v[210:211]
	s_waitcnt lgkmcnt(7)
	v_add_f64 v[200:201], v[190:191], v[194:195]
	v_add_f64 v[190:191], v[190:191], -v[194:195]
	v_add_f64 v[194:195], v[182:183], v[186:187]
	v_add_f64 v[156:157], v[198:199], -v[152:153]
	v_add_f64 v[152:153], v[198:199], v[152:153]
	v_add_f64 v[198:199], v[188:189], v[192:193]
	v_add_f64 v[188:189], v[188:189], -v[192:193]
	v_add_f64 v[192:193], v[180:181], v[184:185]
	v_add_f64 v[208:209], v[166:167], v[150:151]
	;; [unrolled: 1-line block ×4, first 2 shown]
	v_add_f64 v[180:181], v[180:181], -v[184:185]
	v_add_f64 v[182:183], v[182:183], -v[186:187]
	v_add_f64 v[184:185], v[172:173], v[176:177]
	v_add_f64 v[186:187], v[174:175], v[178:179]
	v_add_f64 v[172:173], v[176:177], -v[172:173]
	v_add_f64 v[174:175], v[178:179], -v[174:175]
	v_add_f64 v[178:179], v[194:195], v[200:201]
	v_add_f64 v[176:177], v[192:193], v[198:199]
	;; [unrolled: 1-line block ×3, first 2 shown]
	v_add_f64 v[166:167], v[208:209], -v[202:203]
	v_add_f64 v[160:161], v[148:149], v[146:147]
	v_add_f64 v[162:163], v[150:151], -v[144:145]
	v_add_f64 v[148:149], v[148:149], -v[146:147]
	v_add_f64 v[150:151], v[144:145], v[150:151]
	v_add_f64 v[144:145], v[206:207], -v[204:205]
	v_add_f64 v[146:147], v[202:203], v[208:209]
	v_add_f64 v[204:205], v[194:195], -v[200:201]
	v_add_f64 v[200:201], v[200:201], -v[186:187]
	;; [unrolled: 1-line block ×3, first 2 shown]
	v_add_f64 v[206:207], v[172:173], v[180:181]
	v_add_f64 v[208:209], v[174:175], v[182:183]
	v_add_f64 v[210:211], v[172:173], -v[180:181]
	v_add_f64 v[178:179], v[186:187], v[178:179]
	v_add_f64 v[202:203], v[192:193], -v[198:199]
	v_add_f64 v[198:199], v[198:199], -v[184:185]
	;; [unrolled: 1-line block ×4, first 2 shown]
	v_add_f64 v[176:177], v[184:185], v[176:177]
	v_add_f64 v[174:175], v[190:191], -v[174:175]
	v_add_f64 v[180:181], v[180:181], -v[188:189]
	;; [unrolled: 1-line block ×3, first 2 shown]
	v_add_f64 v[184:185], v[206:207], v[188:189]
	v_add_f64 v[186:187], v[208:209], v[190:191]
	v_add_f64 v[170:171], v[170:171], v[178:179]
	v_mul_f64 v[190:191], v[200:201], s[26:27]
	v_mul_f64 v[200:201], v[194:195], s[6:7]
	;; [unrolled: 1-line block ×3, first 2 shown]
	v_add_f64 v[172:173], v[188:189], -v[172:173]
	v_add_f64 v[168:169], v[168:169], v[176:177]
	v_mul_f64 v[188:189], v[198:199], s[26:27]
	v_mul_f64 v[198:199], v[192:193], s[6:7]
	;; [unrolled: 1-line block ×5, first 2 shown]
	v_fma_f64 v[178:179], v[178:179], s[18:19], v[170:171]
	v_fma_f64 v[200:201], v[204:205], s[14:15], -v[200:201]
	v_fma_f64 v[180:181], v[180:181], s[24:25], -v[206:207]
	v_fma_f64 v[176:177], v[176:177], s[18:19], v[168:169]
	v_fma_f64 v[198:199], v[202:203], s[14:15], -v[198:199]
	v_fma_f64 v[182:183], v[182:183], s[24:25], -v[208:209]
	v_fma_f64 v[192:193], v[192:193], s[6:7], v[188:189]
	v_fma_f64 v[194:195], v[194:195], s[6:7], v[190:191]
	v_fma_f64 v[188:189], v[202:203], s[16:17], -v[188:189]
	v_fma_f64 v[190:191], v[204:205], s[16:17], -v[190:191]
	v_fma_f64 v[202:203], v[172:173], s[8:9], v[206:207]
	v_fma_f64 v[204:205], v[174:175], s[8:9], v[208:209]
	;; [unrolled: 1-line block ×4, first 2 shown]
	v_add_f64 v[200:201], v[200:201], v[178:179]
	v_fma_f64 v[210:211], v[184:185], s[2:3], v[180:181]
	v_add_f64 v[198:199], v[198:199], v[176:177]
	v_fma_f64 v[180:181], v[186:187], s[2:3], v[182:183]
	v_fma_f64 v[202:203], v[184:185], s[2:3], v[202:203]
	;; [unrolled: 1-line block ×5, first 2 shown]
	v_add_f64 v[206:207], v[192:193], v[176:177]
	v_add_f64 v[186:187], v[210:211], v[200:201]
	v_add_f64 v[182:183], v[200:201], -v[210:211]
	s_waitcnt lgkmcnt(0)
	v_add_f64 v[200:201], v[132:133], v[136:137]
	v_add_f64 v[132:133], v[132:133], -v[136:137]
	v_add_f64 v[136:137], v[124:125], v[128:129]
	v_add_f64 v[184:185], v[198:199], -v[180:181]
	v_add_f64 v[180:181], v[198:199], v[180:181]
	v_add_f64 v[198:199], v[134:135], v[138:139]
	v_add_f64 v[134:135], v[134:135], -v[138:139]
	v_add_f64 v[138:139], v[126:127], v[130:131]
	v_add_f64 v[208:209], v[194:195], v[178:179]
	;; [unrolled: 1-line block ×4, first 2 shown]
	v_add_f64 v[128:129], v[124:125], -v[128:129]
	v_add_f64 v[130:131], v[126:127], -v[130:131]
	v_add_f64 v[126:127], v[116:117], v[120:121]
	v_add_f64 v[124:125], v[118:119], v[122:123]
	v_add_f64 v[116:117], v[120:121], -v[116:117]
	v_add_f64 v[118:119], v[122:123], -v[118:119]
	v_add_f64 v[120:121], v[136:137], v[200:201]
	v_add_f64 v[122:123], v[138:139], v[198:199]
	;; [unrolled: 1-line block ×3, first 2 shown]
	v_add_f64 v[194:195], v[208:209], -v[202:203]
	v_add_f64 v[188:189], v[176:177], v[174:175]
	v_add_f64 v[190:191], v[178:179], -v[172:173]
	v_add_f64 v[176:177], v[176:177], -v[174:175]
	v_add_f64 v[178:179], v[172:173], v[178:179]
	v_add_f64 v[172:173], v[206:207], -v[204:205]
	v_add_f64 v[174:175], v[202:203], v[208:209]
	v_add_f64 v[202:203], v[136:137], -v[200:201]
	v_add_f64 v[204:205], v[138:139], -v[198:199]
	;; [unrolled: 1-line block ×4, first 2 shown]
	v_add_f64 v[206:207], v[116:117], v[128:129]
	v_add_f64 v[208:209], v[118:119], v[130:131]
	v_add_f64 v[210:211], v[116:117], -v[128:129]
	v_add_f64 v[212:213], v[118:119], -v[130:131]
	v_add_f64 v[120:121], v[126:127], v[120:121]
	v_add_f64 v[200:201], v[200:201], -v[126:127]
	v_add_f64 v[138:139], v[124:125], -v[138:139]
	;; [unrolled: 3-line block ×3, first 2 shown]
	v_add_f64 v[130:131], v[130:131], -v[134:135]
	v_add_f64 v[124:125], v[206:207], v[132:133]
	v_add_f64 v[126:127], v[208:209], v[134:135]
	;; [unrolled: 1-line block ×3, first 2 shown]
	v_mul_f64 v[134:135], v[198:199], s[26:27]
	v_mul_f64 v[198:199], v[136:137], s[6:7]
	;; [unrolled: 1-line block ×4, first 2 shown]
	v_add_f64 v[116:117], v[132:133], -v[116:117]
	v_add_f64 v[2:3], v[2:3], v[122:123]
	v_mul_f64 v[132:133], v[200:201], s[26:27]
	v_mul_f64 v[200:201], v[138:139], s[6:7]
	;; [unrolled: 1-line block ×4, first 2 shown]
	v_fma_f64 v[120:121], v[120:121], s[18:19], v[0:1]
	v_fma_f64 v[198:199], v[202:203], s[14:15], -v[198:199]
	v_fma_f64 v[128:129], v[128:129], s[24:25], -v[206:207]
	;; [unrolled: 1-line block ×3, first 2 shown]
	v_fma_f64 v[122:123], v[122:123], s[18:19], v[2:3]
	v_fma_f64 v[136:137], v[136:137], s[6:7], v[132:133]
	;; [unrolled: 1-line block ×3, first 2 shown]
	v_fma_f64 v[200:201], v[204:205], s[14:15], -v[200:201]
	v_fma_f64 v[132:133], v[202:203], s[16:17], -v[132:133]
	;; [unrolled: 1-line block ×3, first 2 shown]
	v_fma_f64 v[202:203], v[116:117], s[8:9], v[206:207]
	v_fma_f64 v[204:205], v[118:119], s[8:9], v[208:209]
	v_fma_f64 v[116:117], v[116:117], s[22:23], v[210:211]
	v_fma_f64 v[118:119], v[118:119], s[22:23], v[212:213]
	v_add_f64 v[198:199], v[198:199], v[120:121]
	v_fma_f64 v[206:207], v[124:125], s[2:3], v[128:129]
	v_fma_f64 v[128:129], v[126:127], s[2:3], v[130:131]
	v_add_f64 v[136:137], v[136:137], v[120:121]
	v_add_f64 v[138:139], v[138:139], v[122:123]
	v_fma_f64 v[202:203], v[124:125], s[2:3], v[202:203]
	v_fma_f64 v[204:205], v[126:127], s[2:3], v[204:205]
	v_add_f64 v[132:133], v[132:133], v[120:121]
	v_add_f64 v[134:135], v[134:135], v[122:123]
	v_fma_f64 v[208:209], v[124:125], s[2:3], v[116:117]
	v_fma_f64 v[210:211], v[126:127], s[2:3], v[118:119]
	v_add_f64 v[124:125], v[198:199], -v[128:129]
	v_add_f64 v[128:129], v[198:199], v[128:129]
	v_mul_lo_u16_e32 v198, 7, v214
	v_add_f64 v[200:201], v[200:201], v[122:123]
	v_lshlrev_b32_e32 v197, 4, v198
	s_waitcnt lgkmcnt(0)
	; wave barrier
	buffer_store_dword v197, off, s[40:43], 0 offset:2832 ; 4-byte Folded Spill
	ds_write_b128 v197, v[4:7]
	ds_write_b128 v197, v[28:31] offset:16
	ds_write_b128 v197, v[24:27] offset:32
	;; [unrolled: 1-line block ×6, first 2 shown]
	v_mul_u32_u24_e32 v4, 7, v215
	v_lshlrev_b32_e32 v4, 4, v4
	buffer_store_dword v4, off, s[40:43], 0 offset:2788 ; 4-byte Folded Spill
	ds_write_b128 v4, v[32:35]
	ds_write_b128 v4, v[56:59] offset:16
	ds_write_b128 v4, v[52:55] offset:32
	;; [unrolled: 1-line block ×6, first 2 shown]
	v_mul_u32_u24_e32 v4, 7, v216
	v_lshlrev_b32_e32 v4, 4, v4
	v_mov_b32_e32 v12, v217
	buffer_store_dword v4, off, s[40:43], 0 offset:2524 ; 4-byte Folded Spill
	ds_write_b128 v4, v[60:63]
	ds_write_b128 v4, v[84:87] offset:16
	ds_write_b128 v4, v[80:83] offset:32
	;; [unrolled: 1-line block ×6, first 2 shown]
	v_mul_u32_u24_e32 v4, 7, v12
	v_add_f64 v[116:117], v[136:137], v[204:205]
	v_add_f64 v[118:119], v[138:139], -v[202:203]
	v_lshlrev_b32_e32 v4, 4, v4
	v_mov_b32_e32 v13, v218
	v_add_f64 v[120:121], v[132:133], v[210:211]
	v_add_f64 v[122:123], v[134:135], -v[208:209]
	buffer_store_dword v4, off, s[40:43], 0 offset:2228 ; 4-byte Folded Spill
	ds_write_b128 v4, v[88:91]
	ds_write_b128 v4, v[112:115] offset:16
	ds_write_b128 v4, v[108:111] offset:32
	;; [unrolled: 1-line block ×6, first 2 shown]
	v_mul_u32_u24_e32 v4, 7, v13
	v_add_f64 v[126:127], v[206:207], v[200:201]
	v_lshlrev_b32_e32 v4, 4, v4
	v_mov_b32_e32 v50, v219
	v_add_f64 v[130:131], v[200:201], -v[206:207]
	buffer_store_dword v4, off, s[40:43], 0 offset:1724 ; 4-byte Folded Spill
	ds_write_b128 v4, v[140:143]
	ds_write_b128 v4, v[164:167] offset:16
	ds_write_b128 v4, v[160:163] offset:32
	ds_write_b128 v4, v[156:159] offset:48
	ds_write_b128 v4, v[152:155] offset:64
	ds_write_b128 v4, v[148:151] offset:80
	ds_write_b128 v4, v[144:147] offset:96
	v_mul_u32_u24_e32 v4, 7, v50
	v_add_f64 v[132:133], v[132:133], -v[210:211]
	v_add_f64 v[134:135], v[208:209], v[134:135]
	v_lshlrev_b32_e32 v4, 4, v4
	v_mov_b32_e32 v51, v220
	v_add_f64 v[136:137], v[136:137], -v[204:205]
	v_add_f64 v[138:139], v[202:203], v[138:139]
	buffer_store_dword v4, off, s[40:43], 0 offset:1284 ; 4-byte Folded Spill
	ds_write_b128 v4, v[168:171]
	ds_write_b128 v4, v[192:195] offset:16
	ds_write_b128 v4, v[188:191] offset:32
	;; [unrolled: 1-line block ×6, first 2 shown]
	v_mul_u32_u24_e32 v4, 7, v51
	v_lshlrev_b32_e32 v4, 4, v4
	buffer_store_dword v4, off, s[40:43], 0 offset:796 ; 4-byte Folded Spill
	ds_write_b128 v4, v[0:3]
	ds_write_b128 v4, v[116:119] offset:16
	ds_write_b128 v4, v[120:123] offset:32
	;; [unrolled: 1-line block ×6, first 2 shown]
	s_waitcnt lgkmcnt(0)
	; wave barrier
	s_waitcnt lgkmcnt(0)
	ds_read_b128 v[16:19], v196
	ds_read_b128 v[192:195], v196 offset:5488
	ds_read_b128 v[188:191], v196 offset:10976
	ds_read_b128 v[184:187], v196 offset:16464
	ds_read_b128 v[180:183], v196 offset:21952
	ds_read_b128 v[176:179], v196 offset:27440
	ds_read_b128 v[172:175], v196 offset:32928
	ds_read_b128 v[197:200], v196 offset:784
	ds_read_b128 v[168:171], v196 offset:6272
	ds_read_b128 v[164:167], v196 offset:11760
	ds_read_b128 v[160:163], v196 offset:17248
	ds_read_b128 v[156:159], v196 offset:22736
	ds_read_b128 v[152:155], v196 offset:28224
	ds_read_b128 v[148:151], v196 offset:33712
	ds_read_b128 v[205:208], v196 offset:1568
	ds_read_b128 v[144:147], v196 offset:7056
	ds_read_b128 v[140:143], v196 offset:12544
	ds_read_b128 v[136:139], v196 offset:18032
	ds_read_b128 v[132:135], v196 offset:23520
	ds_read_b128 v[128:131], v196 offset:29008
	ds_read_b128 v[124:127], v196 offset:34496
	ds_read_b128 v[0:3], v196 offset:2352
	s_waitcnt lgkmcnt(0)
	buffer_store_dword v0, off, s[40:43], 0 offset:1332 ; 4-byte Folded Spill
	s_nop 0
	buffer_store_dword v1, off, s[40:43], 0 offset:1336 ; 4-byte Folded Spill
	buffer_store_dword v2, off, s[40:43], 0 offset:1340 ; 4-byte Folded Spill
	buffer_store_dword v3, off, s[40:43], 0 offset:1344 ; 4-byte Folded Spill
	ds_read_b128 v[120:123], v196 offset:7840
	ds_read_b128 v[116:119], v196 offset:13328
	ds_read_b128 v[112:115], v196 offset:18816
	ds_read_b128 v[108:111], v196 offset:24304
	ds_read_b128 v[104:107], v196 offset:29792
	ds_read_b128 v[100:103], v196 offset:35280
	ds_read_b128 v[0:3], v196 offset:3136
	s_waitcnt lgkmcnt(0)
	buffer_store_dword v0, off, s[40:43], 0 offset:1236 ; 4-byte Folded Spill
	s_nop 0
	buffer_store_dword v1, off, s[40:43], 0 offset:1240 ; 4-byte Folded Spill
	buffer_store_dword v2, off, s[40:43], 0 offset:1244 ; 4-byte Folded Spill
	buffer_store_dword v3, off, s[40:43], 0 offset:1248 ; 4-byte Folded Spill
	ds_read_b128 v[96:99], v196 offset:8624
	ds_read_b128 v[92:95], v196 offset:14112
	ds_read_b128 v[88:91], v196 offset:19600
	ds_read_b128 v[84:87], v196 offset:25088
	ds_read_b128 v[80:83], v196 offset:30576
	ds_read_b128 v[76:79], v196 offset:36064
	ds_read_b128 v[0:3], v196 offset:3920
	;; [unrolled: 13-line block ×3, first 2 shown]
	s_waitcnt lgkmcnt(0)
	buffer_store_dword v0, off, s[40:43], 0 offset:812 ; 4-byte Folded Spill
	s_nop 0
	buffer_store_dword v1, off, s[40:43], 0 offset:816 ; 4-byte Folded Spill
	buffer_store_dword v2, off, s[40:43], 0 offset:820 ; 4-byte Folded Spill
	;; [unrolled: 1-line block ×3, first 2 shown]
	v_mov_b32_e32 v2, 37
	v_mul_lo_u16_sdwa v0, v214, v2 dst_sel:DWORD dst_unused:UNUSED_PAD src0_sel:BYTE_0 src1_sel:DWORD
	v_sub_u16_sdwa v1, v214, v0 dst_sel:DWORD dst_unused:UNUSED_PAD src0_sel:DWORD src1_sel:BYTE_1
	v_lshrrev_b16_e32 v1, 1, v1
	v_and_b32_e32 v1, 0x7f, v1
	v_add_u16_sdwa v0, v1, v0 dst_sel:DWORD dst_unused:UNUSED_PAD src0_sel:DWORD src1_sel:BYTE_1
	v_lshrrev_b16_e32 v0, 2, v0
	ds_read_b128 v[44:47], v196 offset:10192
	ds_read_b128 v[40:43], v196 offset:15680
	;; [unrolled: 1-line block ×6, first 2 shown]
	buffer_store_dword v0, off, s[40:43], 0 offset:908 ; 4-byte Folded Spill
	v_mul_lo_u16_e32 v0, 7, v0
	v_sub_u16_e32 v0, v214, v0
	v_and_b32_e32 v0, 0xff, v0
	buffer_store_dword v0, off, s[40:43], 0 offset:932 ; 4-byte Folded Spill
	v_mul_u32_u24_e32 v0, 6, v0
	buffer_store_dword v214, off, s[40:43], 0 ; 4-byte Folded Spill
	v_lshlrev_b32_e32 v3, 4, v0
	global_load_dwordx4 v[4:7], v3, s[10:11] offset:48
	global_load_dwordx4 v[8:11], v3, s[10:11] offset:32
	s_waitcnt vmcnt(0)
	buffer_store_dword v8, off, s[40:43], 0 offset:860 ; 4-byte Folded Spill
	s_nop 0
	buffer_store_dword v9, off, s[40:43], 0 offset:864 ; 4-byte Folded Spill
	buffer_store_dword v10, off, s[40:43], 0 offset:868 ; 4-byte Folded Spill
	;; [unrolled: 1-line block ×3, first 2 shown]
	global_load_dwordx4 v[36:39], v3, s[10:11] offset:16
	global_load_dwordx4 v[201:204], v3, s[10:11]
	s_waitcnt vmcnt(0)
	buffer_store_dword v201, off, s[40:43], 0 offset:828 ; 4-byte Folded Spill
	s_nop 0
	buffer_store_dword v202, off, s[40:43], 0 offset:832 ; 4-byte Folded Spill
	buffer_store_dword v203, off, s[40:43], 0 offset:836 ; 4-byte Folded Spill
	buffer_store_dword v204, off, s[40:43], 0 offset:840 ; 4-byte Folded Spill
	buffer_store_dword v36, off, s[40:43], 0 offset:844 ; 4-byte Folded Spill
	s_nop 0
	buffer_store_dword v37, off, s[40:43], 0 offset:848 ; 4-byte Folded Spill
	buffer_store_dword v38, off, s[40:43], 0 offset:852 ; 4-byte Folded Spill
	buffer_store_dword v39, off, s[40:43], 0 offset:856 ; 4-byte Folded Spill
	;; [unrolled: 5-line block ×3, first 2 shown]
	v_mul_f64 v[0:1], v[194:195], v[203:204]
	v_fma_f64 v[246:247], v[192:193], v[201:202], -v[0:1]
	v_mul_f64 v[0:1], v[192:193], v[203:204]
	v_fma_f64 v[48:49], v[194:195], v[201:202], v[0:1]
	v_mul_f64 v[0:1], v[190:191], v[38:39]
	v_fma_f64 v[248:249], v[188:189], v[36:37], -v[0:1]
	v_mul_f64 v[0:1], v[188:189], v[38:39]
	v_fma_f64 v[254:255], v[190:191], v[36:37], v[0:1]
	;; [unrolled: 4-line block ×4, first 2 shown]
	global_load_dwordx4 v[180:183], v3, s[10:11] offset:80
	s_waitcnt vmcnt(0)
	buffer_store_dword v180, off, s[40:43], 0 offset:980 ; 4-byte Folded Spill
	s_nop 0
	buffer_store_dword v181, off, s[40:43], 0 offset:984 ; 4-byte Folded Spill
	buffer_store_dword v182, off, s[40:43], 0 offset:988 ; 4-byte Folded Spill
	;; [unrolled: 1-line block ×3, first 2 shown]
	global_load_dwordx4 v[184:187], v3, s[10:11] offset:64
	s_waitcnt vmcnt(0)
	buffer_store_dword v184, off, s[40:43], 0 offset:964 ; 4-byte Folded Spill
	s_nop 0
	buffer_store_dword v185, off, s[40:43], 0 offset:968 ; 4-byte Folded Spill
	buffer_store_dword v186, off, s[40:43], 0 offset:972 ; 4-byte Folded Spill
	;; [unrolled: 1-line block ×3, first 2 shown]
	v_mul_lo_u16_sdwa v5, v215, v2 dst_sel:DWORD dst_unused:UNUSED_PAD src0_sel:BYTE_0 src1_sel:DWORD
	v_sub_u16_sdwa v14, v215, v5 dst_sel:DWORD dst_unused:UNUSED_PAD src0_sel:DWORD src1_sel:BYTE_1
	v_lshrrev_b16_e32 v14, 1, v14
	v_and_b32_e32 v14, 0x7f, v14
	v_add_u16_sdwa v5, v14, v5 dst_sel:DWORD dst_unused:UNUSED_PAD src0_sel:DWORD src1_sel:BYTE_1
	v_lshrrev_b16_e32 v5, 2, v5
	buffer_store_dword v5, off, s[40:43], 0 offset:996 ; 4-byte Folded Spill
	v_mul_lo_u16_e32 v5, 7, v5
	v_sub_u16_e32 v5, v215, v5
	v_and_b32_e32 v5, 0xff, v5
	buffer_store_dword v5, off, s[40:43], 0 offset:1012 ; 4-byte Folded Spill
	v_mul_u32_u24_e32 v5, 6, v5
	buffer_store_dword v215, off, s[40:43], 0 offset:1428 ; 4-byte Folded Spill
	v_lshlrev_b32_e32 v5, 4, v5
	v_mul_f64 v[0:1], v[178:179], v[186:187]
	v_fma_f64 v[6:7], v[176:177], v[184:185], -v[0:1]
	v_mul_f64 v[0:1], v[176:177], v[186:187]
	v_fma_f64 v[3:4], v[178:179], v[184:185], v[0:1]
	v_mul_f64 v[0:1], v[174:175], v[182:183]
	v_fma_f64 v[10:11], v[172:173], v[180:181], -v[0:1]
	v_mul_f64 v[0:1], v[172:173], v[182:183]
	v_fma_f64 v[0:1], v[174:175], v[180:181], v[0:1]
	global_load_dwordx4 v[172:175], v5, s[10:11] offset:48
	global_load_dwordx4 v[176:179], v5, s[10:11] offset:32
	s_waitcnt vmcnt(0)
	buffer_store_dword v176, off, s[40:43], 0 offset:1188 ; 4-byte Folded Spill
	s_nop 0
	buffer_store_dword v177, off, s[40:43], 0 offset:1192 ; 4-byte Folded Spill
	buffer_store_dword v178, off, s[40:43], 0 offset:1196 ; 4-byte Folded Spill
	;; [unrolled: 1-line block ×3, first 2 shown]
	global_load_dwordx4 v[180:183], v5, s[10:11] offset:16
	global_load_dwordx4 v[184:187], v5, s[10:11]
	s_waitcnt vmcnt(0)
	buffer_store_dword v184, off, s[40:43], 0 offset:1108 ; 4-byte Folded Spill
	s_nop 0
	buffer_store_dword v185, off, s[40:43], 0 offset:1112 ; 4-byte Folded Spill
	buffer_store_dword v186, off, s[40:43], 0 offset:1116 ; 4-byte Folded Spill
	buffer_store_dword v187, off, s[40:43], 0 offset:1120 ; 4-byte Folded Spill
	buffer_store_dword v180, off, s[40:43], 0 offset:1140 ; 4-byte Folded Spill
	s_nop 0
	buffer_store_dword v181, off, s[40:43], 0 offset:1144 ; 4-byte Folded Spill
	buffer_store_dword v182, off, s[40:43], 0 offset:1148 ; 4-byte Folded Spill
	buffer_store_dword v183, off, s[40:43], 0 offset:1152 ; 4-byte Folded Spill
	;; [unrolled: 5-line block ×3, first 2 shown]
	v_mul_f64 v[14:15], v[170:171], v[186:187]
	v_fma_f64 v[228:229], v[168:169], v[184:185], -v[14:15]
	v_mul_f64 v[14:15], v[168:169], v[186:187]
	v_fma_f64 v[232:233], v[170:171], v[184:185], v[14:15]
	v_mul_f64 v[14:15], v[166:167], v[182:183]
	v_fma_f64 v[226:227], v[164:165], v[180:181], -v[14:15]
	v_mul_f64 v[14:15], v[164:165], v[182:183]
	v_fma_f64 v[230:231], v[166:167], v[180:181], v[14:15]
	;; [unrolled: 4-line block ×4, first 2 shown]
	global_load_dwordx4 v[156:159], v5, s[10:11] offset:80
	s_waitcnt vmcnt(0)
	buffer_store_dword v156, off, s[40:43], 0 offset:1380 ; 4-byte Folded Spill
	s_nop 0
	buffer_store_dword v157, off, s[40:43], 0 offset:1384 ; 4-byte Folded Spill
	buffer_store_dword v158, off, s[40:43], 0 offset:1388 ; 4-byte Folded Spill
	;; [unrolled: 1-line block ×3, first 2 shown]
	global_load_dwordx4 v[160:163], v5, s[10:11] offset:64
	s_waitcnt vmcnt(0)
	buffer_store_dword v160, off, s[40:43], 0 offset:1364 ; 4-byte Folded Spill
	s_nop 0
	buffer_store_dword v161, off, s[40:43], 0 offset:1368 ; 4-byte Folded Spill
	buffer_store_dword v162, off, s[40:43], 0 offset:1372 ; 4-byte Folded Spill
	;; [unrolled: 1-line block ×3, first 2 shown]
	v_mul_lo_u16_sdwa v5, v216, v2 dst_sel:DWORD dst_unused:UNUSED_PAD src0_sel:BYTE_0 src1_sel:DWORD
	buffer_store_dword v216, off, s[40:43], 0 offset:892 ; 4-byte Folded Spill
	v_mul_f64 v[14:15], v[154:155], v[162:163]
	v_fma_f64 v[238:239], v[152:153], v[160:161], -v[14:15]
	v_mul_f64 v[14:15], v[152:153], v[162:163]
	v_fma_f64 v[240:241], v[154:155], v[160:161], v[14:15]
	v_mul_f64 v[14:15], v[150:151], v[158:159]
	v_fma_f64 v[242:243], v[148:149], v[156:157], -v[14:15]
	v_mul_f64 v[14:15], v[148:149], v[158:159]
	v_fma_f64 v[244:245], v[150:151], v[156:157], v[14:15]
	v_sub_u16_sdwa v14, v216, v5 dst_sel:DWORD dst_unused:UNUSED_PAD src0_sel:DWORD src1_sel:BYTE_1
	v_lshrrev_b16_e32 v14, 1, v14
	v_and_b32_e32 v14, 0x7f, v14
	v_add_u16_sdwa v5, v14, v5 dst_sel:DWORD dst_unused:UNUSED_PAD src0_sel:DWORD src1_sel:BYTE_1
	v_lshrrev_b16_e32 v5, 2, v5
	buffer_store_dword v5, off, s[40:43], 0 offset:1076 ; 4-byte Folded Spill
	v_mul_lo_u16_e32 v5, 7, v5
	v_sub_u16_e32 v5, v216, v5
	v_and_b32_e32 v5, 0xff, v5
	buffer_store_dword v5, off, s[40:43], 0 offset:1092 ; 4-byte Folded Spill
	v_mul_u32_u24_e32 v5, 6, v5
	v_lshlrev_b32_e32 v5, 4, v5
	global_load_dwordx4 v[148:151], v5, s[10:11] offset:48
	global_load_dwordx4 v[152:155], v5, s[10:11] offset:32
	s_waitcnt vmcnt(0)
	buffer_store_dword v152, off, s[40:43], 0 offset:1528 ; 4-byte Folded Spill
	s_nop 0
	buffer_store_dword v153, off, s[40:43], 0 offset:1532 ; 4-byte Folded Spill
	buffer_store_dword v154, off, s[40:43], 0 offset:1536 ; 4-byte Folded Spill
	;; [unrolled: 1-line block ×3, first 2 shown]
	global_load_dwordx4 v[156:159], v5, s[10:11] offset:16
	global_load_dwordx4 v[160:163], v5, s[10:11]
	s_waitcnt vmcnt(0)
	buffer_store_dword v160, off, s[40:43], 0 offset:1496 ; 4-byte Folded Spill
	s_nop 0
	buffer_store_dword v161, off, s[40:43], 0 offset:1500 ; 4-byte Folded Spill
	buffer_store_dword v162, off, s[40:43], 0 offset:1504 ; 4-byte Folded Spill
	buffer_store_dword v163, off, s[40:43], 0 offset:1508 ; 4-byte Folded Spill
	buffer_store_dword v156, off, s[40:43], 0 offset:1512 ; 4-byte Folded Spill
	s_nop 0
	buffer_store_dword v157, off, s[40:43], 0 offset:1516 ; 4-byte Folded Spill
	buffer_store_dword v158, off, s[40:43], 0 offset:1520 ; 4-byte Folded Spill
	buffer_store_dword v159, off, s[40:43], 0 offset:1524 ; 4-byte Folded Spill
	;; [unrolled: 5-line block ×3, first 2 shown]
	v_mul_f64 v[14:15], v[146:147], v[162:163]
	v_fma_f64 v[164:165], v[144:145], v[160:161], -v[14:15]
	v_mul_f64 v[14:15], v[144:145], v[162:163]
	v_fma_f64 v[144:145], v[146:147], v[160:161], v[14:15]
	v_mul_f64 v[14:15], v[142:143], v[158:159]
	v_fma_f64 v[160:161], v[140:141], v[156:157], -v[14:15]
	v_mul_f64 v[14:15], v[140:141], v[158:159]
	v_fma_f64 v[38:39], v[142:143], v[156:157], v[14:15]
	;; [unrolled: 4-line block ×4, first 2 shown]
	global_load_dwordx4 v[132:135], v5, s[10:11] offset:80
	s_waitcnt vmcnt(0)
	buffer_store_dword v132, off, s[40:43], 0 offset:1676 ; 4-byte Folded Spill
	s_nop 0
	buffer_store_dword v133, off, s[40:43], 0 offset:1680 ; 4-byte Folded Spill
	buffer_store_dword v134, off, s[40:43], 0 offset:1684 ; 4-byte Folded Spill
	;; [unrolled: 1-line block ×3, first 2 shown]
	global_load_dwordx4 v[136:139], v5, s[10:11] offset:64
	s_waitcnt vmcnt(0)
	buffer_store_dword v136, off, s[40:43], 0 offset:1660 ; 4-byte Folded Spill
	s_nop 0
	buffer_store_dword v137, off, s[40:43], 0 offset:1664 ; 4-byte Folded Spill
	buffer_store_dword v138, off, s[40:43], 0 offset:1668 ; 4-byte Folded Spill
	buffer_store_dword v139, off, s[40:43], 0 offset:1672 ; 4-byte Folded Spill
	v_mul_lo_u16_sdwa v5, v12, v2 dst_sel:DWORD dst_unused:UNUSED_PAD src0_sel:BYTE_0 src1_sel:DWORD
	buffer_store_dword v12, off, s[40:43], 0 offset:1028 ; 4-byte Folded Spill
	v_mul_f64 v[14:15], v[130:131], v[138:139]
	v_fma_f64 v[214:215], v[128:129], v[136:137], -v[14:15]
	v_mul_f64 v[14:15], v[128:129], v[138:139]
	v_fma_f64 v[216:217], v[130:131], v[136:137], v[14:15]
	v_mul_f64 v[14:15], v[126:127], v[134:135]
	v_fma_f64 v[218:219], v[124:125], v[132:133], -v[14:15]
	v_mul_f64 v[14:15], v[124:125], v[134:135]
	v_fma_f64 v[220:221], v[126:127], v[132:133], v[14:15]
	v_sub_u16_sdwa v14, v12, v5 dst_sel:DWORD dst_unused:UNUSED_PAD src0_sel:DWORD src1_sel:BYTE_1
	v_lshrrev_b16_e32 v14, 1, v14
	v_and_b32_e32 v14, 0x7f, v14
	v_add_u16_sdwa v5, v14, v5 dst_sel:DWORD dst_unused:UNUSED_PAD src0_sel:DWORD src1_sel:BYTE_1
	v_lshrrev_b16_e32 v5, 2, v5
	buffer_store_dword v5, off, s[40:43], 0 offset:1124 ; 4-byte Folded Spill
	v_mul_lo_u16_e32 v5, 7, v5
	v_sub_u16_e32 v5, v12, v5
	v_and_b32_e32 v5, 0xff, v5
	buffer_store_dword v5, off, s[40:43], 0 offset:1156 ; 4-byte Folded Spill
	v_mul_u32_u24_e32 v5, 6, v5
	v_lshlrev_b32_e32 v5, 4, v5
	global_load_dwordx4 v[124:127], v5, s[10:11] offset:48
	global_load_dwordx4 v[128:131], v5, s[10:11] offset:32
	;; [unrolled: 1-line block ×3, first 2 shown]
	global_load_dwordx4 v[136:139], v5, s[10:11]
	v_mov_b32_e32 v12, v13
	v_mul_lo_u16_sdwa v2, v12, v2 dst_sel:DWORD dst_unused:UNUSED_PAD src0_sel:BYTE_0 src1_sel:DWORD
	s_waitcnt vmcnt(0)
	v_mul_f64 v[14:15], v[122:123], v[138:139]
	v_fma_f64 v[14:15], v[120:121], v[136:137], -v[14:15]
	buffer_store_dword v136, off, s[40:43], 0 offset:1804 ; 4-byte Folded Spill
	s_nop 0
	buffer_store_dword v137, off, s[40:43], 0 offset:1808 ; 4-byte Folded Spill
	buffer_store_dword v138, off, s[40:43], 0 offset:1812 ; 4-byte Folded Spill
	buffer_store_dword v139, off, s[40:43], 0 offset:1816 ; 4-byte Folded Spill
	buffer_store_dword v132, off, s[40:43], 0 offset:1820 ; 4-byte Folded Spill
	s_nop 0
	buffer_store_dword v133, off, s[40:43], 0 offset:1824 ; 4-byte Folded Spill
	buffer_store_dword v134, off, s[40:43], 0 offset:1828 ; 4-byte Folded Spill
	buffer_store_dword v135, off, s[40:43], 0 offset:1832 ; 4-byte Folded Spill
	;; [unrolled: 5-line block ×4, first 2 shown]
	v_mul_f64 v[120:121], v[120:121], v[138:139]
	v_fma_f64 v[122:123], v[122:123], v[136:137], v[120:121]
	v_mul_f64 v[120:121], v[118:119], v[134:135]
	v_fma_f64 v[120:121], v[116:117], v[132:133], -v[120:121]
	v_mul_f64 v[116:117], v[116:117], v[134:135]
	v_fma_f64 v[118:119], v[118:119], v[132:133], v[116:117]
	v_mul_f64 v[116:117], v[114:115], v[130:131]
	v_fma_f64 v[116:117], v[112:113], v[128:129], -v[116:117]
	;; [unrolled: 4-line block ×3, first 2 shown]
	v_mul_f64 v[108:109], v[108:109], v[126:127]
	v_fma_f64 v[108:109], v[110:111], v[124:125], v[108:109]
	global_load_dwordx4 v[124:127], v5, s[10:11] offset:80
	global_load_dwordx4 v[128:131], v5, s[10:11] offset:64
	s_waitcnt vmcnt(0)
	buffer_store_dword v128, off, s[40:43], 0 offset:1964 ; 4-byte Folded Spill
	s_nop 0
	buffer_store_dword v129, off, s[40:43], 0 offset:1968 ; 4-byte Folded Spill
	buffer_store_dword v130, off, s[40:43], 0 offset:1972 ; 4-byte Folded Spill
	;; [unrolled: 1-line block ×4, first 2 shown]
	s_nop 0
	buffer_store_dword v125, off, s[40:43], 0 offset:1984 ; 4-byte Folded Spill
	buffer_store_dword v126, off, s[40:43], 0 offset:1988 ; 4-byte Folded Spill
	;; [unrolled: 1-line block ×3, first 2 shown]
	v_sub_u16_sdwa v5, v12, v2 dst_sel:DWORD dst_unused:UNUSED_PAD src0_sel:DWORD src1_sel:BYTE_1
	v_lshrrev_b16_e32 v5, 1, v5
	v_and_b32_e32 v5, 0x7f, v5
	v_add_u16_sdwa v2, v5, v2 dst_sel:DWORD dst_unused:UNUSED_PAD src0_sel:DWORD src1_sel:BYTE_1
	v_lshrrev_b16_e32 v2, 2, v2
	buffer_store_dword v2, off, s[40:43], 0 offset:1172 ; 4-byte Folded Spill
	v_mul_lo_u16_e32 v2, 7, v2
	v_sub_u16_e32 v2, v12, v2
	v_and_b32_e32 v2, 0xff, v2
	buffer_store_dword v2, off, s[40:43], 0 offset:1204 ; 4-byte Folded Spill
	v_mul_u32_u24_e32 v2, 6, v2
	buffer_store_dword v12, off, s[40:43], 0 offset:1044 ; 4-byte Folded Spill
	v_lshlrev_b32_e32 v2, 4, v2
	v_mov_b32_e32 v12, v50
	v_mul_f64 v[110:111], v[106:107], v[130:131]
	v_fma_f64 v[110:111], v[104:105], v[128:129], -v[110:111]
	v_mul_f64 v[104:105], v[104:105], v[130:131]
	v_fma_f64 v[104:105], v[106:107], v[128:129], v[104:105]
	v_mul_f64 v[106:107], v[102:103], v[126:127]
	v_fma_f64 v[106:107], v[100:101], v[124:125], -v[106:107]
	v_mul_f64 v[100:101], v[100:101], v[126:127]
	v_fma_f64 v[100:101], v[102:103], v[124:125], v[100:101]
	global_load_dwordx4 v[136:139], v2, s[10:11] offset:48
	global_load_dwordx4 v[140:143], v2, s[10:11] offset:32
	;; [unrolled: 1-line block ×3, first 2 shown]
	global_load_dwordx4 v[128:131], v2, s[10:11]
	s_waitcnt vmcnt(0)
	v_mul_f64 v[102:103], v[98:99], v[130:131]
	v_fma_f64 v[132:133], v[96:97], v[128:129], -v[102:103]
	buffer_store_dword v128, off, s[40:43], 0 offset:2048 ; 4-byte Folded Spill
	s_nop 0
	buffer_store_dword v129, off, s[40:43], 0 offset:2052 ; 4-byte Folded Spill
	buffer_store_dword v130, off, s[40:43], 0 offset:2056 ; 4-byte Folded Spill
	;; [unrolled: 1-line block ×3, first 2 shown]
	v_mul_f64 v[96:97], v[96:97], v[130:131]
	v_fma_f64 v[134:135], v[98:99], v[128:129], v[96:97]
	v_mov_b32_e32 v131, v127
	v_mov_b32_e32 v130, v126
	;; [unrolled: 1-line block ×4, first 2 shown]
	buffer_store_dword v128, off, s[40:43], 0 offset:2080 ; 4-byte Folded Spill
	s_nop 0
	buffer_store_dword v129, off, s[40:43], 0 offset:2084 ; 4-byte Folded Spill
	buffer_store_dword v130, off, s[40:43], 0 offset:2088 ; 4-byte Folded Spill
	;; [unrolled: 1-line block ×4, first 2 shown]
	s_nop 0
	buffer_store_dword v141, off, s[40:43], 0 offset:2132 ; 4-byte Folded Spill
	buffer_store_dword v142, off, s[40:43], 0 offset:2136 ; 4-byte Folded Spill
	;; [unrolled: 1-line block ×3, first 2 shown]
	v_mul_f64 v[96:97], v[94:95], v[130:131]
	v_fma_f64 v[148:149], v[92:93], v[128:129], -v[96:97]
	v_mul_f64 v[92:93], v[92:93], v[130:131]
	v_fma_f64 v[130:131], v[94:95], v[128:129], v[92:93]
	v_mul_f64 v[92:93], v[90:91], v[142:143]
	v_fma_f64 v[150:151], v[88:89], v[140:141], -v[92:93]
	v_mul_f64 v[88:89], v[88:89], v[142:143]
	v_fma_f64 v[128:129], v[90:91], v[140:141], v[88:89]
	v_mov_b32_e32 v90, v136
	v_mov_b32_e32 v91, v137
	;; [unrolled: 1-line block ×4, first 2 shown]
	buffer_store_dword v90, off, s[40:43], 0 offset:2144 ; 4-byte Folded Spill
	s_nop 0
	buffer_store_dword v91, off, s[40:43], 0 offset:2148 ; 4-byte Folded Spill
	buffer_store_dword v92, off, s[40:43], 0 offset:2152 ; 4-byte Folded Spill
	;; [unrolled: 1-line block ×3, first 2 shown]
	v_mul_f64 v[88:89], v[86:87], v[92:93]
	v_fma_f64 v[136:137], v[84:85], v[90:91], -v[88:89]
	v_mul_f64 v[84:85], v[84:85], v[92:93]
	v_fma_f64 v[138:139], v[86:87], v[90:91], v[84:85]
	global_load_dwordx4 v[86:89], v2, s[10:11] offset:80
	global_load_dwordx4 v[90:93], v2, s[10:11] offset:64
	v_mul_u32_u24_sdwa v2, v12, s35 dst_sel:DWORD dst_unused:UNUSED_PAD src0_sel:WORD_0 src1_sel:DWORD
	v_sub_u16_sdwa v5, v12, v2 dst_sel:DWORD dst_unused:UNUSED_PAD src0_sel:DWORD src1_sel:WORD_1
	v_lshrrev_b16_e32 v5, 1, v5
	v_add_u16_sdwa v2, v5, v2 dst_sel:DWORD dst_unused:UNUSED_PAD src0_sel:DWORD src1_sel:WORD_1
	v_lshrrev_b16_e32 v2, 2, v2
	s_waitcnt vmcnt(0)
	v_mul_f64 v[84:85], v[82:83], v[92:93]
	v_fma_f64 v[140:141], v[80:81], v[90:91], -v[84:85]
	buffer_store_dword v90, off, s[40:43], 0 offset:2232 ; 4-byte Folded Spill
	s_nop 0
	buffer_store_dword v91, off, s[40:43], 0 offset:2236 ; 4-byte Folded Spill
	buffer_store_dword v92, off, s[40:43], 0 offset:2240 ; 4-byte Folded Spill
	;; [unrolled: 1-line block ×4, first 2 shown]
	s_nop 0
	buffer_store_dword v87, off, s[40:43], 0 offset:2252 ; 4-byte Folded Spill
	buffer_store_dword v88, off, s[40:43], 0 offset:2256 ; 4-byte Folded Spill
	;; [unrolled: 1-line block ×4, first 2 shown]
	v_mul_lo_u16_e32 v2, 7, v2
	v_sub_u16_e32 v2, v12, v2
	buffer_store_dword v2, off, s[40:43], 0 offset:1268 ; 4-byte Folded Spill
	v_mul_lo_u16_e32 v2, 6, v2
	buffer_store_dword v12, off, s[40:43], 0 offset:1060 ; 4-byte Folded Spill
	v_lshlrev_b32_e32 v2, 4, v2
	v_mov_b32_e32 v12, v51
	v_mul_f64 v[80:81], v[80:81], v[92:93]
	v_fma_f64 v[142:143], v[82:83], v[90:91], v[80:81]
	v_mul_f64 v[80:81], v[78:79], v[88:89]
	v_fma_f64 v[126:127], v[76:77], v[86:87], -v[80:81]
	v_mul_f64 v[76:77], v[76:77], v[88:89]
	v_fma_f64 v[124:125], v[78:79], v[86:87], v[76:77]
	global_load_dwordx4 v[78:81], v2, s[10:11] offset:48
	global_load_dwordx4 v[82:85], v2, s[10:11] offset:32
	;; [unrolled: 1-line block ×3, first 2 shown]
	global_load_dwordx4 v[90:93], v2, s[10:11]
	s_waitcnt vmcnt(0)
	v_mul_f64 v[76:77], v[74:75], v[92:93]
	v_fma_f64 v[154:155], v[72:73], v[90:91], -v[76:77]
	buffer_store_dword v90, off, s[40:43], 0 offset:2328 ; 4-byte Folded Spill
	s_nop 0
	buffer_store_dword v91, off, s[40:43], 0 offset:2332 ; 4-byte Folded Spill
	buffer_store_dword v92, off, s[40:43], 0 offset:2336 ; 4-byte Folded Spill
	buffer_store_dword v93, off, s[40:43], 0 offset:2340 ; 4-byte Folded Spill
	buffer_store_dword v86, off, s[40:43], 0 offset:2344 ; 4-byte Folded Spill
	s_nop 0
	buffer_store_dword v87, off, s[40:43], 0 offset:2348 ; 4-byte Folded Spill
	buffer_store_dword v88, off, s[40:43], 0 offset:2352 ; 4-byte Folded Spill
	buffer_store_dword v89, off, s[40:43], 0 offset:2356 ; 4-byte Folded Spill
	;; [unrolled: 5-line block ×4, first 2 shown]
	v_mul_f64 v[72:73], v[72:73], v[92:93]
	v_fma_f64 v[158:159], v[74:75], v[90:91], v[72:73]
	v_mul_f64 v[72:73], v[70:71], v[88:89]
	v_fma_f64 v[176:177], v[68:69], v[86:87], -v[72:73]
	v_mul_f64 v[68:69], v[68:69], v[88:89]
	v_fma_f64 v[156:157], v[70:71], v[86:87], v[68:69]
	v_mul_f64 v[68:69], v[66:67], v[84:85]
	v_fma_f64 v[174:175], v[64:65], v[82:83], -v[68:69]
	;; [unrolled: 4-line block ×3, first 2 shown]
	v_mul_f64 v[60:61], v[60:61], v[80:81]
	v_fma_f64 v[162:163], v[62:63], v[78:79], v[60:61]
	global_load_dwordx4 v[62:65], v2, s[10:11] offset:80
	global_load_dwordx4 v[66:69], v2, s[10:11] offset:64
	s_waitcnt vmcnt(0)
	buffer_store_dword v66, off, s[40:43], 0 offset:2456 ; 4-byte Folded Spill
	s_nop 0
	buffer_store_dword v67, off, s[40:43], 0 offset:2460 ; 4-byte Folded Spill
	buffer_store_dword v68, off, s[40:43], 0 offset:2464 ; 4-byte Folded Spill
	;; [unrolled: 1-line block ×4, first 2 shown]
	s_nop 0
	buffer_store_dword v63, off, s[40:43], 0 offset:2476 ; 4-byte Folded Spill
	buffer_store_dword v64, off, s[40:43], 0 offset:2480 ; 4-byte Folded Spill
	buffer_store_dword v65, off, s[40:43], 0 offset:2484 ; 4-byte Folded Spill
	v_mul_u32_u24_sdwa v2, v12, s35 dst_sel:DWORD dst_unused:UNUSED_PAD src0_sel:WORD_0 src1_sel:DWORD
	v_sub_u16_sdwa v5, v12, v2 dst_sel:DWORD dst_unused:UNUSED_PAD src0_sel:DWORD src1_sel:WORD_1
	v_lshrrev_b16_e32 v5, 1, v5
	v_add_u16_sdwa v2, v5, v2 dst_sel:DWORD dst_unused:UNUSED_PAD src0_sel:DWORD src1_sel:WORD_1
	v_lshrrev_b16_e32 v2, 2, v2
	buffer_store_dword v2, off, s[40:43], 0 offset:1300 ; 4-byte Folded Spill
	v_mul_lo_u16_e32 v2, 7, v2
	v_sub_u16_e32 v2, v12, v2
	buffer_store_dword v2, off, s[40:43], 0 offset:1316 ; 4-byte Folded Spill
	v_mul_lo_u16_e32 v2, 6, v2
	buffer_store_dword v12, off, s[40:43], 0 offset:924 ; 4-byte Folded Spill
	v_lshlrev_b32_e32 v2, 4, v2
	s_movk_i32 s35, 0x60
	v_mul_f64 v[60:61], v[58:59], v[68:69]
	v_fma_f64 v[152:153], v[56:57], v[66:67], -v[60:61]
	v_mul_f64 v[56:57], v[56:57], v[68:69]
	v_fma_f64 v[166:167], v[58:59], v[66:67], v[56:57]
	v_mul_f64 v[56:57], v[54:55], v[64:65]
	v_fma_f64 v[168:169], v[52:53], v[62:63], -v[56:57]
	v_mul_f64 v[52:53], v[52:53], v[64:65]
	v_fma_f64 v[170:171], v[54:55], v[62:63], v[52:53]
	global_load_dwordx4 v[54:57], v2, s[10:11] offset:48
	global_load_dwordx4 v[58:61], v2, s[10:11] offset:32
	;; [unrolled: 1-line block ×3, first 2 shown]
	global_load_dwordx4 v[66:69], v2, s[10:11]
	s_waitcnt vmcnt(0) lgkmcnt(5)
	v_mul_f64 v[52:53], v[46:47], v[68:69]
	v_fma_f64 v[180:181], v[44:45], v[66:67], -v[52:53]
	buffer_store_dword v66, off, s[40:43], 0 offset:2528 ; 4-byte Folded Spill
	s_nop 0
	buffer_store_dword v67, off, s[40:43], 0 offset:2532 ; 4-byte Folded Spill
	buffer_store_dword v68, off, s[40:43], 0 offset:2536 ; 4-byte Folded Spill
	;; [unrolled: 1-line block ×4, first 2 shown]
	s_nop 0
	buffer_store_dword v63, off, s[40:43], 0 offset:2548 ; 4-byte Folded Spill
	buffer_store_dword v64, off, s[40:43], 0 offset:2552 ; 4-byte Folded Spill
	;; [unrolled: 1-line block ×3, first 2 shown]
	v_mul_f64 v[44:45], v[44:45], v[68:69]
	v_fma_f64 v[182:183], v[46:47], v[66:67], v[44:45]
	s_waitcnt lgkmcnt(4)
	v_mul_f64 v[44:45], v[42:43], v[64:65]
	v_fma_f64 v[12:13], v[40:41], v[62:63], -v[44:45]
	v_mul_f64 v[40:41], v[40:41], v[64:65]
	buffer_store_dword v12, off, s[40:43], 0 offset:1412 ; 4-byte Folded Spill
	s_nop 0
	buffer_store_dword v13, off, s[40:43], 0 offset:1416 ; 4-byte Folded Spill
	v_fma_f64 v[12:13], v[42:43], v[62:63], v[40:41]
	buffer_store_dword v12, off, s[40:43], 0 offset:1444 ; 4-byte Folded Spill
	s_nop 0
	buffer_store_dword v13, off, s[40:43], 0 offset:1448 ; 4-byte Folded Spill
	buffer_store_dword v58, off, s[40:43], 0 offset:2560 ; 4-byte Folded Spill
	s_nop 0
	buffer_store_dword v59, off, s[40:43], 0 offset:2564 ; 4-byte Folded Spill
	buffer_store_dword v60, off, s[40:43], 0 offset:2568 ; 4-byte Folded Spill
	;; [unrolled: 1-line block ×3, first 2 shown]
	s_waitcnt lgkmcnt(3)
	v_mul_f64 v[40:41], v[34:35], v[60:61]
	v_fma_f64 v[12:13], v[32:33], v[58:59], -v[40:41]
	v_mul_f64 v[32:33], v[32:33], v[60:61]
	buffer_store_dword v12, off, s[40:43], 0 offset:1348 ; 4-byte Folded Spill
	s_nop 0
	buffer_store_dword v13, off, s[40:43], 0 offset:1352 ; 4-byte Folded Spill
	v_fma_f64 v[12:13], v[34:35], v[58:59], v[32:33]
	buffer_store_dword v12, off, s[40:43], 0 offset:1396 ; 4-byte Folded Spill
	s_nop 0
	buffer_store_dword v13, off, s[40:43], 0 offset:1400 ; 4-byte Folded Spill
	buffer_store_dword v54, off, s[40:43], 0 offset:2576 ; 4-byte Folded Spill
	s_nop 0
	buffer_store_dword v55, off, s[40:43], 0 offset:2580 ; 4-byte Folded Spill
	buffer_store_dword v56, off, s[40:43], 0 offset:2584 ; 4-byte Folded Spill
	;; [unrolled: 1-line block ×3, first 2 shown]
	v_add_f64 v[12:13], v[248:249], v[6:7]
	v_add_f64 v[6:7], v[248:249], -v[6:7]
	v_add_f64 v[60:61], v[236:237], -v[224:225]
	s_waitcnt lgkmcnt(2)
	v_mul_f64 v[32:33], v[30:31], v[56:57]
	v_fma_f64 v[184:185], v[28:29], v[54:55], -v[32:33]
	v_mul_f64 v[28:29], v[28:29], v[56:57]
	v_fma_f64 v[186:187], v[30:31], v[54:55], v[28:29]
	global_load_dwordx4 v[30:33], v2, s[10:11] offset:80
	global_load_dwordx4 v[40:43], v2, s[10:11] offset:64
	s_waitcnt vmcnt(0)
	buffer_store_dword v40, off, s[40:43], 0 offset:2612 ; 4-byte Folded Spill
	s_nop 0
	buffer_store_dword v41, off, s[40:43], 0 offset:2616 ; 4-byte Folded Spill
	buffer_store_dword v42, off, s[40:43], 0 offset:2620 ; 4-byte Folded Spill
	;; [unrolled: 1-line block ×4, first 2 shown]
	s_nop 0
	buffer_store_dword v31, off, s[40:43], 0 offset:2664 ; 4-byte Folded Spill
	buffer_store_dword v32, off, s[40:43], 0 offset:2668 ; 4-byte Folded Spill
	;; [unrolled: 1-line block ×3, first 2 shown]
	s_waitcnt lgkmcnt(1)
	v_mul_f64 v[28:29], v[26:27], v[42:43]
	v_fma_f64 v[188:189], v[24:25], v[40:41], -v[28:29]
	v_mul_f64 v[24:25], v[24:25], v[42:43]
	v_add_f64 v[28:29], v[252:253], v[36:37]
	v_fma_f64 v[190:191], v[26:27], v[40:41], v[24:25]
	s_waitcnt lgkmcnt(0)
	v_mul_f64 v[24:25], v[22:23], v[32:33]
	v_add_f64 v[26:27], v[250:251], v[8:9]
	v_add_f64 v[8:9], v[8:9], -v[250:251]
	v_fma_f64 v[192:193], v[20:21], v[30:31], -v[24:25]
	v_mul_f64 v[20:21], v[20:21], v[32:33]
	v_add_f64 v[24:25], v[254:255], v[3:4]
	v_add_f64 v[2:3], v[254:255], -v[3:4]
	v_add_f64 v[4:5], v[36:37], -v[252:253]
	v_add_f64 v[42:43], v[8:9], v[6:7]
	v_add_f64 v[46:47], v[8:9], -v[6:7]
	v_fma_f64 v[194:195], v[22:23], v[30:31], v[20:21]
	v_add_f64 v[20:21], v[246:247], v[10:11]
	v_add_f64 v[22:23], v[48:49], v[0:1]
	v_add_f64 v[10:11], v[246:247], -v[10:11]
	v_add_f64 v[0:1], v[48:49], -v[0:1]
	v_add_f64 v[44:45], v[4:5], v[2:3]
	v_add_f64 v[52:53], v[4:5], -v[2:3]
	v_add_f64 v[30:31], v[12:13], v[20:21]
	v_add_f64 v[32:33], v[24:25], v[22:23]
	v_add_f64 v[34:35], v[12:13], -v[20:21]
	v_add_f64 v[40:41], v[24:25], -v[22:23]
	;; [unrolled: 1-line block ×8, first 2 shown]
	v_add_f64 v[26:27], v[26:27], v[30:31]
	v_add_f64 v[28:29], v[28:29], v[32:33]
	v_add_f64 v[8:9], v[10:11], -v[8:9]
	v_add_f64 v[4:5], v[0:1], -v[4:5]
	v_add_f64 v[10:11], v[42:43], v[10:11]
	v_add_f64 v[0:1], v[44:45], v[0:1]
	v_mul_f64 v[20:21], v[20:21], s[26:27]
	v_mul_f64 v[22:23], v[22:23], s[26:27]
	v_add_f64 v[16:17], v[16:17], v[26:27]
	v_add_f64 v[18:19], v[18:19], v[28:29]
	v_mul_f64 v[30:31], v[12:13], s[6:7]
	v_mul_f64 v[32:33], v[24:25], s[6:7]
	;; [unrolled: 1-line block ×6, first 2 shown]
	v_fma_f64 v[26:27], v[26:27], s[18:19], v[16:17]
	v_fma_f64 v[28:29], v[28:29], s[18:19], v[18:19]
	;; [unrolled: 1-line block ×4, first 2 shown]
	v_fma_f64 v[30:31], v[34:35], s[14:15], -v[30:31]
	v_fma_f64 v[32:33], v[40:41], s[14:15], -v[32:33]
	;; [unrolled: 1-line block ×4, first 2 shown]
	v_fma_f64 v[34:35], v[8:9], s[8:9], v[42:43]
	v_fma_f64 v[40:41], v[4:5], s[8:9], v[44:45]
	v_fma_f64 v[2:3], v[2:3], s[24:25], -v[44:45]
	v_fma_f64 v[8:9], v[8:9], s[22:23], v[46:47]
	v_fma_f64 v[4:5], v[4:5], s[22:23], v[52:53]
	v_fma_f64 v[6:7], v[6:7], s[24:25], -v[42:43]
	v_add_f64 v[42:43], v[30:31], v[26:27]
	v_add_f64 v[52:53], v[20:21], v[26:27]
	;; [unrolled: 1-line block ×3, first 2 shown]
	v_fma_f64 v[58:59], v[0:1], s[2:3], v[40:41]
	v_fma_f64 v[2:3], v[0:1], s[2:3], v[2:3]
	;; [unrolled: 1-line block ×4, first 2 shown]
	v_add_f64 v[12:13], v[12:13], v[26:27]
	v_add_f64 v[46:47], v[24:25], v[28:29]
	;; [unrolled: 1-line block ×3, first 2 shown]
	v_fma_f64 v[56:57], v[10:11], s[2:3], v[34:35]
	v_fma_f64 v[6:7], v[10:11], s[2:3], v[6:7]
	v_add_f64 v[28:29], v[42:43], -v[2:3]
	v_add_f64 v[22:23], v[54:55], -v[8:9]
	v_add_f64 v[20:21], v[0:1], v[52:53]
	v_add_f64 v[32:33], v[2:3], v[42:43]
	v_add_f64 v[40:41], v[52:53], -v[0:1]
	v_add_f64 v[42:43], v[8:9], v[54:55]
	v_add_f64 v[0:1], v[228:229], v[242:243]
	;; [unrolled: 1-line block ×6, first 2 shown]
	v_add_f64 v[26:27], v[46:47], -v[56:57]
	v_add_f64 v[30:31], v[6:7], v[44:45]
	v_add_f64 v[34:35], v[44:45], -v[6:7]
	v_add_f64 v[44:45], v[12:13], -v[58:59]
	v_add_f64 v[46:47], v[56:57], v[46:47]
	v_add_f64 v[4:5], v[228:229], -v[242:243]
	v_add_f64 v[6:7], v[232:233], -v[244:245]
	;; [unrolled: 1-line block ×4, first 2 shown]
	v_add_f64 v[54:55], v[222:223], v[234:235]
	v_add_f64 v[56:57], v[224:225], v[236:237]
	v_add_f64 v[58:59], v[234:235], -v[222:223]
	v_add_f64 v[62:63], v[8:9], v[0:1]
	v_add_f64 v[64:65], v[10:11], v[2:3]
	v_add_f64 v[66:67], v[8:9], -v[0:1]
	v_add_f64 v[68:69], v[10:11], -v[2:3]
	v_add_f64 v[72:73], v[60:61], v[52:53]
	v_add_f64 v[0:1], v[0:1], -v[54:55]
	v_add_f64 v[2:3], v[2:3], -v[56:57]
	;; [unrolled: 1-line block ×4, first 2 shown]
	v_add_f64 v[70:71], v[58:59], v[12:13]
	v_add_f64 v[74:75], v[58:59], -v[12:13]
	v_add_f64 v[76:77], v[60:61], -v[52:53]
	;; [unrolled: 1-line block ×4, first 2 shown]
	v_add_f64 v[54:55], v[54:55], v[62:63]
	v_add_f64 v[62:63], v[56:57], v[64:65]
	v_add_f64 v[78:79], v[4:5], -v[58:59]
	v_add_f64 v[60:61], v[6:7], -v[60:61]
	v_add_f64 v[4:5], v[70:71], v[4:5]
	v_add_f64 v[6:7], v[72:73], v[6:7]
	v_mul_f64 v[0:1], v[0:1], s[26:27]
	v_mul_f64 v[2:3], v[2:3], s[26:27]
	v_add_f64 v[56:57], v[197:198], v[54:55]
	v_add_f64 v[58:59], v[199:200], v[62:63]
	v_mul_f64 v[48:49], v[8:9], s[6:7]
	v_mul_f64 v[50:51], v[10:11], s[6:7]
	;; [unrolled: 1-line block ×6, first 2 shown]
	v_fma_f64 v[54:55], v[54:55], s[18:19], v[56:57]
	v_fma_f64 v[62:63], v[62:63], s[18:19], v[58:59]
	v_fma_f64 v[8:9], v[8:9], s[6:7], v[0:1]
	v_fma_f64 v[10:11], v[10:11], s[6:7], v[2:3]
	v_fma_f64 v[48:49], v[66:67], s[14:15], -v[48:49]
	v_fma_f64 v[50:51], v[68:69], s[14:15], -v[50:51]
	;; [unrolled: 1-line block ×4, first 2 shown]
	v_fma_f64 v[66:67], v[78:79], s[8:9], v[64:65]
	v_fma_f64 v[68:69], v[60:61], s[8:9], v[70:71]
	v_fma_f64 v[12:13], v[12:13], s[24:25], -v[64:65]
	v_fma_f64 v[52:53], v[52:53], s[24:25], -v[70:71]
	v_fma_f64 v[64:65], v[78:79], s[22:23], v[72:73]
	v_fma_f64 v[60:61], v[60:61], s[22:23], v[74:75]
	v_add_f64 v[8:9], v[8:9], v[54:55]
	v_add_f64 v[10:11], v[10:11], v[62:63]
	;; [unrolled: 1-line block ×6, first 2 shown]
	v_fma_f64 v[54:55], v[4:5], s[2:3], v[66:67]
	v_fma_f64 v[62:63], v[6:7], s[2:3], v[68:69]
	;; [unrolled: 1-line block ×6, first 2 shown]
	v_add_f64 v[60:61], v[202:203], v[212:213]
	v_add_f64 v[76:77], v[212:213], -v[202:203]
	v_add_f64 v[66:67], v[10:11], -v[54:55]
	v_add_f64 v[64:65], v[62:63], v[8:9]
	v_add_f64 v[92:93], v[8:9], -v[62:63]
	v_add_f64 v[94:95], v[54:55], v[10:11]
	;; [unrolled: 2-line block ×4, first 2 shown]
	v_add_f64 v[0:1], v[164:165], v[218:219]
	v_add_f64 v[2:3], v[144:145], v[220:221]
	;; [unrolled: 1-line block ×4, first 2 shown]
	v_add_f64 v[68:69], v[72:73], -v[52:53]
	v_add_f64 v[70:71], v[12:13], v[74:75]
	v_add_f64 v[72:73], v[52:53], v[72:73]
	v_add_f64 v[74:75], v[74:75], -v[12:13]
	v_add_f64 v[4:5], v[164:165], -v[218:219]
	;; [unrolled: 1-line block ×5, first 2 shown]
	v_add_f64 v[54:55], v[146:147], v[210:211]
	v_add_f64 v[62:63], v[210:211], -v[146:147]
	v_add_f64 v[78:79], v[8:9], v[0:1]
	v_add_f64 v[84:85], v[10:11], v[2:3]
	v_add_f64 v[86:87], v[8:9], -v[0:1]
	v_add_f64 v[88:89], v[10:11], -v[2:3]
	;; [unrolled: 1-line block ×6, first 2 shown]
	v_add_f64 v[90:91], v[62:63], v[12:13]
	v_add_f64 v[96:97], v[76:77], v[52:53]
	v_add_f64 v[98:99], v[62:63], -v[12:13]
	v_add_f64 v[102:103], v[76:77], -v[52:53]
	;; [unrolled: 1-line block ×4, first 2 shown]
	v_add_f64 v[54:55], v[54:55], v[78:79]
	v_add_f64 v[60:61], v[60:61], v[84:85]
	v_add_f64 v[62:63], v[4:5], -v[62:63]
	v_add_f64 v[76:77], v[6:7], -v[76:77]
	v_add_f64 v[4:5], v[90:91], v[4:5]
	v_add_f64 v[6:7], v[96:97], v[6:7]
	v_mul_f64 v[0:1], v[0:1], s[26:27]
	v_mul_f64 v[2:3], v[2:3], s[26:27]
	v_add_f64 v[36:37], v[205:206], v[54:55]
	v_add_f64 v[38:39], v[207:208], v[60:61]
	v_mul_f64 v[78:79], v[8:9], s[6:7]
	v_mul_f64 v[84:85], v[10:11], s[6:7]
	;; [unrolled: 1-line block ×6, first 2 shown]
	v_fma_f64 v[54:55], v[54:55], s[18:19], v[36:37]
	v_fma_f64 v[60:61], v[60:61], s[18:19], v[38:39]
	;; [unrolled: 1-line block ×4, first 2 shown]
	v_fma_f64 v[78:79], v[86:87], s[14:15], -v[78:79]
	v_fma_f64 v[84:85], v[88:89], s[14:15], -v[84:85]
	;; [unrolled: 1-line block ×4, first 2 shown]
	v_fma_f64 v[86:87], v[62:63], s[8:9], v[90:91]
	v_fma_f64 v[88:89], v[76:77], s[8:9], v[96:97]
	v_fma_f64 v[12:13], v[12:13], s[24:25], -v[90:91]
	v_fma_f64 v[52:53], v[52:53], s[24:25], -v[96:97]
	v_fma_f64 v[62:63], v[62:63], s[22:23], v[98:99]
	v_fma_f64 v[76:77], v[76:77], s[22:23], v[102:103]
	v_add_f64 v[10:11], v[10:11], v[60:61]
	v_add_f64 v[90:91], v[78:79], v[54:55]
	;; [unrolled: 1-line block ×5, first 2 shown]
	v_fma_f64 v[98:99], v[4:5], s[2:3], v[86:87]
	v_fma_f64 v[102:103], v[6:7], s[2:3], v[88:89]
	;; [unrolled: 1-line block ×6, first 2 shown]
	v_add_f64 v[8:9], v[8:9], v[54:55]
	v_add_f64 v[164:165], v[174:175], v[178:179]
	v_add_f64 v[62:63], v[10:11], -v[98:99]
	v_add_f64 v[98:99], v[98:99], v[10:11]
	v_add_f64 v[78:79], v[12:13], v[96:97]
	v_add_f64 v[76:77], v[90:91], -v[84:85]
	v_add_f64 v[54:55], v[2:3], -v[4:5]
	v_add_f64 v[52:53], v[6:7], v[0:1]
	v_add_f64 v[84:85], v[84:85], v[90:91]
	v_add_f64 v[86:87], v[96:97], -v[12:13]
	;; [unrolled: 4-line block ×3, first 2 shown]
	v_add_f64 v[6:7], v[122:123], -v[100:101]
	v_add_f64 v[10:11], v[118:119], v[104:105]
	v_add_f64 v[12:13], v[120:121], -v[110:111]
	v_add_f64 v[14:15], v[118:119], -v[104:105]
	;; [unrolled: 1-line block ×4, first 2 shown]
	v_add_f64 v[60:61], v[102:103], v[8:9]
	v_add_f64 v[96:97], v[8:9], -v[102:103]
	v_add_f64 v[2:3], v[122:123], v[100:101]
	v_add_f64 v[8:9], v[120:121], v[110:111]
	;; [unrolled: 1-line block ×3, first 2 shown]
	v_add_f64 v[198:199], v[12:13], -v[4:5]
	v_add_f64 v[116:117], v[104:105], v[12:13]
	v_add_f64 v[118:119], v[106:107], v[14:15]
	v_add_f64 v[120:121], v[104:105], -v[12:13]
	v_add_f64 v[122:123], v[106:107], -v[14:15]
	;; [unrolled: 1-line block ×3, first 2 shown]
	buffer_load_dword v12, off, s[40:43], 0 offset:1332 ; 4-byte Folded Reload
	buffer_load_dword v13, off, s[40:43], 0 offset:1336 ; 4-byte Folded Reload
	buffer_load_dword v14, off, s[40:43], 0 offset:1340 ; 4-byte Folded Reload
	buffer_load_dword v15, off, s[40:43], 0 offset:1344 ; 4-byte Folded Reload
	v_add_f64 v[102:103], v[112:113], v[108:109]
	v_add_f64 v[108:109], v[8:9], v[0:1]
	;; [unrolled: 1-line block ×3, first 2 shown]
	v_add_f64 v[112:113], v[8:9], -v[0:1]
	v_add_f64 v[114:115], v[10:11], -v[2:3]
	;; [unrolled: 1-line block ×7, first 2 shown]
	v_add_f64 v[100:101], v[100:101], v[108:109]
	v_add_f64 v[102:103], v[102:103], v[110:111]
	v_add_f64 v[106:107], v[6:7], -v[106:107]
	v_add_f64 v[4:5], v[116:117], v[4:5]
	v_add_f64 v[6:7], v[118:119], v[6:7]
	v_mul_f64 v[0:1], v[0:1], s[26:27]
	v_mul_f64 v[2:3], v[2:3], s[26:27]
	;; [unrolled: 1-line block ×8, first 2 shown]
	v_fma_f64 v[8:9], v[8:9], s[6:7], v[0:1]
	v_fma_f64 v[10:11], v[10:11], s[6:7], v[2:3]
	v_fma_f64 v[108:109], v[112:113], s[14:15], -v[108:109]
	v_fma_f64 v[110:111], v[114:115], s[14:15], -v[110:111]
	;; [unrolled: 1-line block ×4, first 2 shown]
	v_fma_f64 v[112:113], v[104:105], s[8:9], v[116:117]
	v_fma_f64 v[114:115], v[106:107], s[8:9], v[118:119]
	v_fma_f64 v[116:117], v[198:199], s[24:25], -v[116:117]
	v_fma_f64 v[118:119], v[200:201], s[24:25], -v[118:119]
	v_fma_f64 v[104:105], v[104:105], s[22:23], v[120:121]
	v_fma_f64 v[106:107], v[106:107], s[22:23], v[122:123]
	v_mov_b32_e32 v225, s11
	v_mov_b32_e32 v224, s10
	v_fma_f64 v[198:199], v[4:5], s[2:3], v[112:113]
	v_fma_f64 v[200:201], v[6:7], s[2:3], v[114:115]
	;; [unrolled: 1-line block ×6, first 2 shown]
	s_waitcnt vmcnt(2)
	v_add_f64 v[12:13], v[12:13], v[100:101]
	s_waitcnt vmcnt(0)
	v_add_f64 v[14:15], v[14:15], v[102:103]
	v_fma_f64 v[100:101], v[100:101], s[18:19], v[12:13]
	v_fma_f64 v[102:103], v[102:103], s[18:19], v[14:15]
	v_add_f64 v[8:9], v[8:9], v[100:101]
	v_add_f64 v[10:11], v[10:11], v[102:103]
	;; [unrolled: 1-line block ×7, first 2 shown]
	v_add_f64 v[106:107], v[10:11], -v[198:199]
	v_add_f64 v[108:109], v[120:121], -v[112:113]
	v_add_f64 v[110:111], v[114:115], v[122:123]
	v_add_f64 v[100:101], v[6:7], v[0:1]
	v_add_f64 v[102:103], v[2:3], -v[4:5]
	v_add_f64 v[112:113], v[112:113], v[120:121]
	v_add_f64 v[114:115], v[122:123], -v[114:115]
	v_add_f64 v[116:117], v[0:1], -v[6:7]
	v_add_f64 v[118:119], v[4:5], v[2:3]
	v_add_f64 v[120:121], v[8:9], -v[200:201]
	v_add_f64 v[122:123], v[198:199], v[10:11]
	v_add_f64 v[0:1], v[132:133], v[126:127]
	;; [unrolled: 1-line block ×3, first 2 shown]
	v_add_f64 v[4:5], v[132:133], -v[126:127]
	v_add_f64 v[6:7], v[134:135], -v[124:125]
	v_add_f64 v[8:9], v[148:149], v[140:141]
	v_add_f64 v[10:11], v[130:131], v[142:143]
	v_add_f64 v[126:127], v[148:149], -v[140:141]
	v_add_f64 v[130:131], v[130:131], -v[142:143]
	v_add_f64 v[132:133], v[150:151], v[136:137]
	v_add_f64 v[134:135], v[128:129], v[138:139]
	;; [unrolled: 4-line block ×3, first 2 shown]
	v_add_f64 v[140:141], v[8:9], -v[0:1]
	v_add_f64 v[142:143], v[10:11], -v[2:3]
	;; [unrolled: 1-line block ×4, first 2 shown]
	v_add_f64 v[8:9], v[124:125], v[126:127]
	v_add_f64 v[10:11], v[128:129], v[130:131]
	v_add_f64 v[198:199], v[124:125], -v[126:127]
	v_add_f64 v[200:201], v[128:129], -v[130:131]
	;; [unrolled: 1-line block ×6, first 2 shown]
	v_add_f64 v[4:5], v[8:9], v[4:5]
	v_add_f64 v[6:7], v[10:11], v[6:7]
	buffer_load_dword v8, off, s[40:43], 0 offset:1236 ; 4-byte Folded Reload
	buffer_load_dword v9, off, s[40:43], 0 offset:1240 ; 4-byte Folded Reload
	;; [unrolled: 1-line block ×4, first 2 shown]
	v_add_f64 v[0:1], v[0:1], -v[132:133]
	v_add_f64 v[2:3], v[2:3], -v[134:135]
	v_add_f64 v[132:133], v[132:133], v[136:137]
	v_add_f64 v[134:135], v[134:135], v[138:139]
	v_mul_f64 v[136:137], v[144:145], s[6:7]
	v_mul_f64 v[138:139], v[146:147], s[6:7]
	;; [unrolled: 1-line block ×8, first 2 shown]
	v_fma_f64 v[136:137], v[140:141], s[14:15], -v[136:137]
	v_fma_f64 v[138:139], v[142:143], s[14:15], -v[138:139]
	;; [unrolled: 1-line block ×4, first 2 shown]
	v_fma_f64 v[144:145], v[144:145], s[6:7], v[0:1]
	v_fma_f64 v[146:147], v[146:147], s[6:7], v[2:3]
	v_fma_f64 v[0:1], v[140:141], s[16:17], -v[0:1]
	v_fma_f64 v[2:3], v[142:143], s[16:17], -v[2:3]
	v_fma_f64 v[140:141], v[124:125], s[8:9], v[198:199]
	v_fma_f64 v[142:143], v[128:129], s[8:9], v[200:201]
	;; [unrolled: 1-line block ×4, first 2 shown]
	v_add_f64 v[148:149], v[178:179], -v[174:175]
	v_add_f64 v[150:151], v[162:163], -v[172:173]
	v_fma_f64 v[198:199], v[4:5], s[2:3], v[140:141]
	v_fma_f64 v[200:201], v[6:7], s[2:3], v[142:143]
	;; [unrolled: 1-line block ×6, first 2 shown]
	s_waitcnt vmcnt(2)
	v_add_f64 v[8:9], v[8:9], v[132:133]
	s_waitcnt vmcnt(0)
	v_add_f64 v[10:11], v[10:11], v[134:135]
	v_fma_f64 v[132:133], v[132:133], s[18:19], v[8:9]
	v_fma_f64 v[134:135], v[134:135], s[18:19], v[10:11]
	v_add_f64 v[136:137], v[136:137], v[132:133]
	v_add_f64 v[138:139], v[138:139], v[134:135]
	;; [unrolled: 1-line block ×6, first 2 shown]
	v_add_f64 v[132:133], v[136:137], -v[142:143]
	v_add_f64 v[134:135], v[140:141], v[138:139]
	v_add_f64 v[124:125], v[6:7], v[0:1]
	v_add_f64 v[126:127], v[2:3], -v[4:5]
	v_add_f64 v[136:137], v[142:143], v[136:137]
	v_add_f64 v[138:139], v[138:139], -v[140:141]
	v_add_f64 v[140:141], v[0:1], -v[6:7]
	v_add_f64 v[142:143], v[4:5], v[2:3]
	v_add_f64 v[0:1], v[154:155], v[168:169]
	;; [unrolled: 1-line block ×3, first 2 shown]
	v_add_f64 v[4:5], v[154:155], -v[168:169]
	v_add_f64 v[6:7], v[158:159], -v[170:171]
	v_add_f64 v[154:155], v[176:177], v[152:153]
	v_add_f64 v[158:159], v[156:157], v[166:167]
	v_add_f64 v[152:153], v[176:177], -v[152:153]
	v_add_f64 v[156:157], v[156:157], -v[166:167]
	v_add_f64 v[128:129], v[200:201], v[144:145]
	v_add_f64 v[130:131], v[146:147], -v[198:199]
	v_add_f64 v[144:145], v[144:145], -v[200:201]
	v_add_f64 v[146:147], v[198:199], v[146:147]
	v_add_f64 v[166:167], v[172:173], v[162:163]
	;; [unrolled: 1-line block ×6, first 2 shown]
	v_add_f64 v[168:169], v[154:155], -v[0:1]
	v_add_f64 v[170:171], v[158:159], -v[2:3]
	;; [unrolled: 1-line block ×12, first 2 shown]
	v_add_f64 v[160:161], v[164:165], v[160:161]
	v_add_f64 v[162:163], v[166:167], v[162:163]
	v_add_f64 v[164:165], v[198:199], v[4:5]
	v_add_f64 v[166:167], v[200:201], v[6:7]
	buffer_load_dword v4, off, s[40:43], 0 offset:948 ; 4-byte Folded Reload
	buffer_load_dword v5, off, s[40:43], 0 offset:952 ; 4-byte Folded Reload
	;; [unrolled: 1-line block ×8, first 2 shown]
	v_mul_f64 v[0:1], v[0:1], s[26:27]
	v_mul_f64 v[2:3], v[2:3], s[26:27]
	;; [unrolled: 1-line block ×8, first 2 shown]
	v_fma_f64 v[154:155], v[154:155], s[6:7], v[0:1]
	v_fma_f64 v[158:159], v[158:159], s[6:7], v[2:3]
	v_fma_f64 v[198:199], v[168:169], s[14:15], -v[198:199]
	v_fma_f64 v[200:201], v[170:171], s[14:15], -v[200:201]
	v_fma_f64 v[0:1], v[168:169], s[16:17], -v[0:1]
	v_fma_f64 v[2:3], v[170:171], s[16:17], -v[2:3]
	v_fma_f64 v[168:169], v[148:149], s[8:9], v[202:203]
	v_fma_f64 v[170:171], v[150:151], s[8:9], v[204:205]
	v_fma_f64 v[152:153], v[152:153], s[24:25], -v[202:203]
	v_fma_f64 v[148:149], v[148:149], s[22:23], v[206:207]
	v_fma_f64 v[150:151], v[150:151], s[22:23], v[208:209]
	v_fma_f64 v[156:157], v[156:157], s[24:25], -v[204:205]
	v_fma_f64 v[206:207], v[164:165], s[2:3], v[168:169]
	v_fma_f64 v[168:169], v[166:167], s[2:3], v[170:171]
	;; [unrolled: 1-line block ×3, first 2 shown]
	s_waitcnt vmcnt(6)
	v_add_f64 v[4:5], v[4:5], v[160:161]
	s_waitcnt vmcnt(4)
	v_add_f64 v[6:7], v[6:7], v[162:163]
	s_waitcnt vmcnt(2)
	v_add_f64 v[176:177], v[172:173], -v[188:189]
	s_waitcnt vmcnt(0)
	v_add_f64 v[178:179], v[174:175], -v[190:191]
	v_fma_f64 v[160:161], v[160:161], s[18:19], v[4:5]
	v_fma_f64 v[162:163], v[162:163], s[18:19], v[6:7]
	v_add_f64 v[0:1], v[0:1], v[160:161]
	v_add_f64 v[204:205], v[158:159], v[162:163]
	;; [unrolled: 1-line block ×4, first 2 shown]
	v_fma_f64 v[162:163], v[164:165], s[2:3], v[152:153]
	v_fma_f64 v[164:165], v[166:167], s[2:3], v[150:151]
	v_add_f64 v[202:203], v[154:155], v[160:161]
	v_add_f64 v[198:199], v[198:199], v[160:161]
	v_fma_f64 v[160:161], v[166:167], s[2:3], v[156:157]
	v_add_f64 v[154:155], v[204:205], -v[206:207]
	v_add_f64 v[150:151], v[2:3], -v[170:171]
	v_add_f64 v[166:167], v[170:171], v[2:3]
	v_add_f64 v[148:149], v[164:165], v[0:1]
	v_add_f64 v[164:165], v[0:1], -v[164:165]
	v_add_f64 v[0:1], v[180:181], v[192:193]
	v_add_f64 v[2:3], v[182:183], v[194:195]
	v_add_f64 v[180:181], v[180:181], -v[192:193]
	v_add_f64 v[182:183], v[182:183], -v[194:195]
	v_add_f64 v[192:193], v[172:173], v[188:189]
	v_add_f64 v[194:195], v[174:175], v[190:191]
	buffer_load_dword v172, off, s[40:43], 0 offset:1348 ; 4-byte Folded Reload
	buffer_load_dword v173, off, s[40:43], 0 offset:1352 ; 4-byte Folded Reload
	;; [unrolled: 1-line block ×4, first 2 shown]
	v_add_f64 v[152:153], v[168:169], v[202:203]
	v_add_f64 v[156:157], v[198:199], -v[160:161]
	v_add_f64 v[158:159], v[162:163], v[200:201]
	v_add_f64 v[160:161], v[160:161], v[198:199]
	v_add_f64 v[162:163], v[200:201], -v[162:163]
	v_add_f64 v[168:169], v[202:203], -v[168:169]
	v_add_f64 v[170:171], v[206:207], v[204:205]
	v_add_f64 v[198:199], v[192:193], -v[0:1]
	v_add_f64 v[200:201], v[194:195], -v[2:3]
	s_waitcnt vmcnt(2)
	v_add_f64 v[188:189], v[172:173], v[184:185]
	s_waitcnt vmcnt(0)
	v_add_f64 v[190:191], v[174:175], v[186:187]
	v_add_f64 v[172:173], v[184:185], -v[172:173]
	v_add_f64 v[174:175], v[186:187], -v[174:175]
	v_add_f64 v[184:185], v[192:193], v[0:1]
	v_add_f64 v[186:187], v[194:195], v[2:3]
	v_add_f64 v[202:203], v[0:1], -v[188:189]
	v_add_f64 v[204:205], v[2:3], -v[190:191]
	v_add_f64 v[0:1], v[172:173], v[176:177]
	v_add_f64 v[2:3], v[174:175], v[178:179]
	v_add_f64 v[206:207], v[172:173], -v[176:177]
	v_add_f64 v[208:209], v[174:175], -v[178:179]
	;; [unrolled: 1-line block ×6, first 2 shown]
	v_add_f64 v[180:181], v[0:1], v[180:181]
	v_add_f64 v[182:183], v[2:3], v[182:183]
	buffer_load_dword v0, off, s[40:43], 0 offset:812 ; 4-byte Folded Reload
	buffer_load_dword v1, off, s[40:43], 0 offset:816 ; 4-byte Folded Reload
	;; [unrolled: 1-line block ×4, first 2 shown]
	v_add_f64 v[192:193], v[188:189], -v[192:193]
	v_add_f64 v[186:187], v[190:191], v[186:187]
	v_add_f64 v[194:195], v[190:191], -v[194:195]
	v_add_f64 v[184:185], v[188:189], v[184:185]
	v_mul_f64 v[188:189], v[202:203], s[26:27]
	v_mul_f64 v[190:191], v[204:205], s[26:27]
	;; [unrolled: 1-line block ×7, first 2 shown]
	v_fma_f64 v[192:193], v[192:193], s[6:7], v[188:189]
	v_fma_f64 v[194:195], v[194:195], s[6:7], v[190:191]
	v_fma_f64 v[188:189], v[198:199], s[16:17], -v[188:189]
	v_fma_f64 v[190:191], v[200:201], s[16:17], -v[190:191]
	;; [unrolled: 1-line block ×3, first 2 shown]
	v_fma_f64 v[198:199], v[172:173], s[8:9], v[206:207]
	v_fma_f64 v[204:205], v[200:201], s[14:15], -v[204:205]
	v_fma_f64 v[200:201], v[174:175], s[8:9], v[208:209]
	v_fma_f64 v[174:175], v[174:175], s[22:23], v[212:213]
	; wave barrier
	buffer_load_dword v197, off, s[40:43], 0 offset:908 ; 4-byte Folded Reload
	v_fma_f64 v[178:179], v[178:179], s[24:25], -v[208:209]
	v_mul_f64 v[210:211], v[176:177], s[4:5]
	v_fma_f64 v[198:199], v[180:181], s[2:3], v[198:199]
	v_fma_f64 v[176:177], v[176:177], s[24:25], -v[206:207]
	v_fma_f64 v[200:201], v[182:183], s[2:3], v[200:201]
	v_fma_f64 v[208:209], v[182:183], s[2:3], v[174:175]
	;; [unrolled: 1-line block ×4, first 2 shown]
	s_waitcnt vmcnt(1)
	v_add_f64 v[2:3], v[2:3], v[186:187]
	v_add_f64 v[0:1], v[0:1], v[184:185]
	v_fma_f64 v[186:187], v[186:187], s[18:19], v[2:3]
	v_fma_f64 v[184:185], v[184:185], s[18:19], v[0:1]
	v_add_f64 v[194:195], v[194:195], v[186:187]
	v_add_f64 v[192:193], v[192:193], v[184:185]
	;; [unrolled: 1-line block ×6, first 2 shown]
	v_fma_f64 v[186:187], v[180:181], s[2:3], v[176:177]
	v_fma_f64 v[184:185], v[182:183], s[2:3], v[178:179]
	v_add_f64 v[174:175], v[194:195], -v[198:199]
	v_add_f64 v[194:195], v[198:199], v[194:195]
	buffer_load_dword v198, off, s[40:43], 0 offset:932 ; 4-byte Folded Reload
	s_waitcnt vmcnt(1)
	v_mul_u32_u24_e32 v197, 49, v197
	v_add_f64 v[172:173], v[200:201], v[192:193]
	v_add_f64 v[176:177], v[208:209], v[188:189]
	v_add_f64 v[178:179], v[190:191], -v[206:207]
	v_add_f64 v[180:181], v[202:203], -v[184:185]
	v_add_f64 v[182:183], v[186:187], v[204:205]
	v_add_f64 v[184:185], v[184:185], v[202:203]
	v_add_f64 v[186:187], v[204:205], -v[186:187]
	v_add_f64 v[188:189], v[188:189], -v[208:209]
	v_add_f64 v[190:191], v[206:207], v[190:191]
	v_add_f64 v[192:193], v[192:193], -v[200:201]
	s_waitcnt vmcnt(0)
	v_add_lshl_u32 v197, v197, v198, 4
	buffer_store_dword v197, off, s[40:43], 0 offset:2840 ; 4-byte Folded Spill
	ds_write_b128 v197, v[16:19]
	ds_write_b128 v197, v[24:27] offset:112
	ds_write_b128 v197, v[20:23] offset:224
	ds_write_b128 v197, v[28:31] offset:336
	ds_write_b128 v197, v[32:35] offset:448
	ds_write_b128 v197, v[40:43] offset:560
	ds_write_b128 v197, v[44:47] offset:672
	buffer_load_dword v16, off, s[40:43], 0 offset:996 ; 4-byte Folded Reload
	buffer_load_dword v17, off, s[40:43], 0 offset:1012 ; 4-byte Folded Reload
	s_waitcnt vmcnt(1)
	v_mul_u32_u24_e32 v16, 49, v16
	s_waitcnt vmcnt(0)
	v_add_lshl_u32 v16, v16, v17, 4
	buffer_store_dword v16, off, s[40:43], 0 offset:2836 ; 4-byte Folded Spill
	ds_write_b128 v16, v[56:59]
	ds_write_b128 v16, v[64:67] offset:112
	ds_write_b128 v16, v[48:51] offset:224
	ds_write_b128 v16, v[68:71] offset:336
	ds_write_b128 v16, v[72:75] offset:448
	ds_write_b128 v16, v[80:83] offset:560
	ds_write_b128 v16, v[92:95] offset:672
	buffer_load_dword v16, off, s[40:43], 0 offset:1076 ; 4-byte Folded Reload
	buffer_load_dword v17, off, s[40:43], 0 offset:1092 ; 4-byte Folded Reload
	s_waitcnt vmcnt(1)
	v_mul_u32_u24_e32 v16, 49, v16
	;; [unrolled: 14-line block ×4, first 2 shown]
	s_waitcnt vmcnt(0)
	v_add_lshl_u32 v12, v12, v13, 4
	buffer_store_dword v12, off, s[40:43], 0 offset:2028 ; 4-byte Folded Spill
	ds_write_b128 v12, v[8:11]
	ds_write_b128 v12, v[128:131] offset:112
	ds_write_b128 v12, v[124:127] offset:224
	;; [unrolled: 1-line block ×6, first 2 shown]
	buffer_load_dword v8, off, s[40:43], 0 offset:1252 ; 4-byte Folded Reload
	buffer_load_dword v9, off, s[40:43], 0 offset:1268 ; 4-byte Folded Reload
	s_waitcnt vmcnt(0)
	v_mad_legacy_u16 v8, v8, 49, v9
	v_lshlrev_b32_e32 v8, 4, v8
	buffer_store_dword v8, off, s[40:43], 0 offset:1476 ; 4-byte Folded Spill
	ds_write_b128 v8, v[4:7]
	ds_write_b128 v8, v[152:155] offset:112
	ds_write_b128 v8, v[148:151] offset:224
	;; [unrolled: 1-line block ×6, first 2 shown]
	buffer_load_dword v4, off, s[40:43], 0 offset:1300 ; 4-byte Folded Reload
	buffer_load_dword v5, off, s[40:43], 0 offset:1316 ; 4-byte Folded Reload
	s_waitcnt vmcnt(0)
	v_mad_legacy_u16 v4, v4, 49, v5
	v_lshlrev_b32_e32 v4, 4, v4
	buffer_store_dword v4, off, s[40:43], 0 offset:812 ; 4-byte Folded Spill
	ds_write_b128 v4, v[0:3]
	ds_write_b128 v4, v[172:175] offset:112
	ds_write_b128 v4, v[176:179] offset:224
	;; [unrolled: 1-line block ×6, first 2 shown]
	s_waitcnt lgkmcnt(0)
	; wave barrier
	s_waitcnt lgkmcnt(0)
	ds_read_b128 v[16:19], v196
	ds_read_b128 v[192:195], v196 offset:5488
	ds_read_b128 v[188:191], v196 offset:10976
	;; [unrolled: 1-line block ×42, first 2 shown]
	s_waitcnt lgkmcnt(0)
	buffer_store_dword v0, off, s[40:43], 0 offset:1076 ; 4-byte Folded Spill
	s_nop 0
	buffer_store_dword v1, off, s[40:43], 0 offset:1080 ; 4-byte Folded Spill
	buffer_store_dword v2, off, s[40:43], 0 offset:1084 ; 4-byte Folded Spill
	;; [unrolled: 1-line block ×3, first 2 shown]
	ds_read_b128 v[40:43], v196 offset:10192
	ds_read_b128 v[36:39], v196 offset:15680
	;; [unrolled: 1-line block ×6, first 2 shown]
	buffer_load_dword v0, off, s[40:43], 0  ; 4-byte Folded Reload
	s_waitcnt vmcnt(0)
	v_mad_u64_u32 v[226:227], s[36:37], v0, s35, v[224:225]
	global_load_dwordx4 v[228:231], v[226:227], off offset:720
	global_load_dwordx4 v[204:207], v[226:227], off offset:704
	;; [unrolled: 1-line block ×4, first 2 shown]
	s_movk_i32 s36, 0x4f
	s_waitcnt vmcnt(0)
	v_mul_f64 v[0:1], v[194:195], v[238:239]
	v_fma_f64 v[12:13], v[192:193], v[236:237], -v[0:1]
	v_mul_f64 v[0:1], v[192:193], v[238:239]
	v_fma_f64 v[10:11], v[194:195], v[236:237], v[0:1]
	v_mul_f64 v[0:1], v[190:191], v[234:235]
	v_fma_f64 v[44:45], v[188:189], v[232:233], -v[0:1]
	v_mul_f64 v[0:1], v[188:189], v[234:235]
	v_fma_f64 v[14:15], v[190:191], v[232:233], v[0:1]
	;; [unrolled: 4-line block ×4, first 2 shown]
	global_load_dwordx4 v[180:183], v[226:227], off offset:752
	global_load_dwordx4 v[184:187], v[226:227], off offset:736
	s_nop 0
	buffer_store_dword v236, off, s[40:43], 0 offset:1092 ; 4-byte Folded Spill
	s_nop 0
	buffer_store_dword v237, off, s[40:43], 0 offset:1096 ; 4-byte Folded Spill
	buffer_store_dword v238, off, s[40:43], 0 offset:1100 ; 4-byte Folded Spill
	;; [unrolled: 1-line block ×4, first 2 shown]
	s_nop 0
	buffer_store_dword v233, off, s[40:43], 0 offset:1128 ; 4-byte Folded Spill
	buffer_store_dword v234, off, s[40:43], 0 offset:1132 ; 4-byte Folded Spill
	;; [unrolled: 1-line block ×3, first 2 shown]
	s_waitcnt vmcnt(9)
	v_mul_f64 v[50:51], v[172:173], v[182:183]
	s_waitcnt vmcnt(8)
	v_mul_f64 v[0:1], v[178:179], v[186:187]
	v_fma_f64 v[50:51], v[174:175], v[180:181], v[50:51]
	v_fma_f64 v[4:5], v[176:177], v[184:185], -v[0:1]
	v_mul_f64 v[0:1], v[176:177], v[186:187]
	v_fma_f64 v[2:3], v[178:179], v[184:185], v[0:1]
	v_mul_f64 v[0:1], v[174:175], v[182:183]
	v_mov_b32_e32 v174, v204
	v_mov_b32_e32 v175, v205
	;; [unrolled: 1-line block ×4, first 2 shown]
	buffer_store_dword v174, off, s[40:43], 0 offset:1156 ; 4-byte Folded Spill
	s_nop 0
	buffer_store_dword v175, off, s[40:43], 0 offset:1160 ; 4-byte Folded Spill
	buffer_store_dword v176, off, s[40:43], 0 offset:1164 ; 4-byte Folded Spill
	buffer_store_dword v177, off, s[40:43], 0 offset:1168 ; 4-byte Folded Spill
	buffer_store_dword v228, off, s[40:43], 0 offset:1204 ; 4-byte Folded Spill
	s_nop 0
	buffer_store_dword v229, off, s[40:43], 0 offset:1208 ; 4-byte Folded Spill
	buffer_store_dword v230, off, s[40:43], 0 offset:1212 ; 4-byte Folded Spill
	buffer_store_dword v231, off, s[40:43], 0 offset:1216 ; 4-byte Folded Spill
	;; [unrolled: 5-line block ×3, first 2 shown]
	v_fma_f64 v[0:1], v[172:173], v[180:181], -v[0:1]
	v_mul_f64 v[172:173], v[170:171], v[238:239]
	buffer_store_dword v180, off, s[40:43], 0 offset:1268 ; 4-byte Folded Spill
	s_nop 0
	buffer_store_dword v181, off, s[40:43], 0 offset:1272 ; 4-byte Folded Spill
	buffer_store_dword v182, off, s[40:43], 0 offset:1276 ; 4-byte Folded Spill
	;; [unrolled: 1-line block ×3, first 2 shown]
	v_fma_f64 v[172:173], v[168:169], v[236:237], -v[172:173]
	v_mul_f64 v[168:169], v[168:169], v[238:239]
	v_fma_f64 v[168:169], v[170:171], v[236:237], v[168:169]
	v_mul_f64 v[170:171], v[166:167], v[234:235]
	v_fma_f64 v[250:251], v[164:165], v[232:233], -v[170:171]
	v_mul_f64 v[164:165], v[164:165], v[234:235]
	v_fma_f64 v[252:253], v[166:167], v[232:233], v[164:165]
	v_mul_f64 v[164:165], v[162:163], v[176:177]
	;; [unrolled: 4-line block ×3, first 2 shown]
	v_fma_f64 v[254:255], v[156:157], v[228:229], -v[160:161]
	buffer_load_dword v160, off, s[40:43], 0 offset:892 ; 4-byte Folded Reload
	v_mul_f64 v[156:157], v[156:157], v[230:231]
	v_fma_f64 v[158:159], v[158:159], v[228:229], v[156:157]
	v_mul_f64 v[156:157], v[154:155], v[186:187]
	v_fma_f64 v[156:157], v[152:153], v[184:185], -v[156:157]
	v_mul_f64 v[152:153], v[152:153], v[186:187]
	v_fma_f64 v[154:155], v[154:155], v[184:185], v[152:153]
	v_mul_f64 v[152:153], v[150:151], v[182:183]
	v_fma_f64 v[152:153], v[148:149], v[180:181], -v[152:153]
	v_mul_f64 v[148:149], v[148:149], v[182:183]
	v_fma_f64 v[148:149], v[150:151], v[180:181], v[148:149]
	s_waitcnt vmcnt(0)
	v_mul_lo_u16_sdwa v150, v160, s36 dst_sel:DWORD dst_unused:UNUSED_PAD src0_sel:BYTE_0 src1_sel:DWORD
	v_sub_u16_sdwa v151, v160, v150 dst_sel:DWORD dst_unused:UNUSED_PAD src0_sel:DWORD src1_sel:BYTE_1
	v_lshrrev_b16_e32 v151, 1, v151
	v_and_b32_e32 v151, 0x7f, v151
	v_add_u16_sdwa v150, v151, v150 dst_sel:DWORD dst_unused:UNUSED_PAD src0_sel:DWORD src1_sel:BYTE_1
	v_lshrrev_b16_e32 v150, 5, v150
	v_mul_lo_u16_e32 v150, 49, v150
	v_sub_u16_e32 v150, v160, v150
	v_and_b32_e32 v197, 0xff, v150
	v_mad_u64_u32 v[160:161], s[38:39], v197, s35, v[224:225]
	global_load_dwordx4 v[162:165], v[160:161], off offset:720
	global_load_dwordx4 v[174:177], v[160:161], off offset:704
	;; [unrolled: 1-line block ×4, first 2 shown]
	s_waitcnt vmcnt(0)
	v_mul_f64 v[150:151], v[146:147], v[184:185]
	v_fma_f64 v[150:151], v[144:145], v[182:183], -v[150:151]
	buffer_store_dword v182, off, s[40:43], 0 offset:892 ; 4-byte Folded Spill
	s_nop 0
	buffer_store_dword v183, off, s[40:43], 0 offset:896 ; 4-byte Folded Spill
	buffer_store_dword v184, off, s[40:43], 0 offset:900 ; 4-byte Folded Spill
	buffer_store_dword v185, off, s[40:43], 0 offset:904 ; 4-byte Folded Spill
	buffer_store_dword v178, off, s[40:43], 0 offset:908 ; 4-byte Folded Spill
	s_nop 0
	buffer_store_dword v179, off, s[40:43], 0 offset:912 ; 4-byte Folded Spill
	buffer_store_dword v180, off, s[40:43], 0 offset:916 ; 4-byte Folded Spill
	buffer_store_dword v181, off, s[40:43], 0 offset:920 ; 4-byte Folded Spill
	;; [unrolled: 5-line block ×4, first 2 shown]
	v_mul_f64 v[144:145], v[144:145], v[184:185]
	v_fma_f64 v[236:237], v[146:147], v[182:183], v[144:145]
	v_mul_f64 v[144:145], v[142:143], v[180:181]
	v_fma_f64 v[144:145], v[140:141], v[178:179], -v[144:145]
	v_mul_f64 v[140:141], v[140:141], v[180:181]
	v_fma_f64 v[140:141], v[142:143], v[178:179], v[140:141]
	v_mul_f64 v[142:143], v[138:139], v[176:177]
	v_fma_f64 v[142:143], v[136:137], v[174:175], -v[142:143]
	;; [unrolled: 4-line block ×3, first 2 shown]
	v_mul_f64 v[132:133], v[132:133], v[164:165]
	v_fma_f64 v[240:241], v[134:135], v[162:163], v[132:133]
	global_load_dwordx4 v[162:165], v[160:161], off offset:752
	global_load_dwordx4 v[174:177], v[160:161], off offset:736
	s_waitcnt vmcnt(0)
	v_mul_f64 v[132:133], v[130:131], v[176:177]
	v_fma_f64 v[242:243], v[128:129], v[174:175], -v[132:133]
	buffer_store_dword v174, off, s[40:43], 0 offset:996 ; 4-byte Folded Spill
	s_nop 0
	buffer_store_dword v175, off, s[40:43], 0 offset:1000 ; 4-byte Folded Spill
	buffer_store_dword v176, off, s[40:43], 0 offset:1004 ; 4-byte Folded Spill
	;; [unrolled: 1-line block ×4, first 2 shown]
	s_nop 0
	buffer_store_dword v163, off, s[40:43], 0 offset:1016 ; 4-byte Folded Spill
	buffer_store_dword v164, off, s[40:43], 0 offset:1020 ; 4-byte Folded Spill
	;; [unrolled: 1-line block ×3, first 2 shown]
	v_mul_f64 v[128:129], v[128:129], v[176:177]
	v_fma_f64 v[244:245], v[130:131], v[174:175], v[128:129]
	v_mul_f64 v[128:129], v[126:127], v[164:165]
	v_fma_f64 v[246:247], v[124:125], v[162:163], -v[128:129]
	v_mul_f64 v[124:125], v[124:125], v[164:165]
	v_fma_f64 v[248:249], v[126:127], v[162:163], v[124:125]
	buffer_load_dword v126, off, s[40:43], 0 offset:1028 ; 4-byte Folded Reload
	s_waitcnt vmcnt(0)
	v_mul_lo_u16_sdwa v124, v126, s36 dst_sel:DWORD dst_unused:UNUSED_PAD src0_sel:BYTE_0 src1_sel:DWORD
	v_sub_u16_sdwa v125, v126, v124 dst_sel:DWORD dst_unused:UNUSED_PAD src0_sel:DWORD src1_sel:BYTE_1
	v_lshrrev_b16_e32 v125, 1, v125
	v_and_b32_e32 v125, 0x7f, v125
	v_add_u16_sdwa v124, v125, v124 dst_sel:DWORD dst_unused:UNUSED_PAD src0_sel:DWORD src1_sel:BYTE_1
	v_lshrrev_b16_e32 v124, 5, v124
	v_mul_lo_u16_e32 v124, 49, v124
	v_sub_u16_e32 v124, v126, v124
	v_and_b32_e32 v228, 0xff, v124
	v_mad_u64_u32 v[124:125], s[38:39], v228, s35, v[224:225]
	global_load_dwordx4 v[128:131], v[124:125], off offset:720
	global_load_dwordx4 v[132:135], v[124:125], off offset:704
	;; [unrolled: 1-line block ×4, first 2 shown]
	s_waitcnt vmcnt(0)
	buffer_store_dword v164, off, s[40:43], 0 offset:1300 ; 4-byte Folded Spill
	s_nop 0
	buffer_store_dword v165, off, s[40:43], 0 offset:1304 ; 4-byte Folded Spill
	buffer_store_dword v166, off, s[40:43], 0 offset:1308 ; 4-byte Folded Spill
	buffer_store_dword v167, off, s[40:43], 0 offset:1312 ; 4-byte Folded Spill
	buffer_store_dword v160, off, s[40:43], 0 offset:1316 ; 4-byte Folded Spill
	s_nop 0
	buffer_store_dword v161, off, s[40:43], 0 offset:1320 ; 4-byte Folded Spill
	buffer_store_dword v162, off, s[40:43], 0 offset:1324 ; 4-byte Folded Spill
	buffer_store_dword v163, off, s[40:43], 0 offset:1328 ; 4-byte Folded Spill
	;; [unrolled: 5-line block ×4, first 2 shown]
	v_mul_f64 v[126:127], v[122:123], v[166:167]
	v_fma_f64 v[198:199], v[120:121], v[164:165], -v[126:127]
	v_mul_f64 v[120:121], v[120:121], v[166:167]
	v_fma_f64 v[122:123], v[122:123], v[164:165], v[120:121]
	v_mul_f64 v[120:121], v[118:119], v[162:163]
	v_fma_f64 v[120:121], v[116:117], v[160:161], -v[120:121]
	v_mul_f64 v[116:117], v[116:117], v[162:163]
	v_fma_f64 v[118:119], v[118:119], v[160:161], v[116:117]
	;; [unrolled: 4-line block ×4, first 2 shown]
	global_load_dwordx4 v[126:129], v[124:125], off offset:752
	global_load_dwordx4 v[130:133], v[124:125], off offset:736
	s_waitcnt vmcnt(0)
	buffer_store_dword v130, off, s[40:43], 0 offset:1396 ; 4-byte Folded Spill
	s_nop 0
	buffer_store_dword v131, off, s[40:43], 0 offset:1400 ; 4-byte Folded Spill
	buffer_store_dword v132, off, s[40:43], 0 offset:1404 ; 4-byte Folded Spill
	;; [unrolled: 1-line block ×4, first 2 shown]
	s_nop 0
	buffer_store_dword v127, off, s[40:43], 0 offset:1416 ; 4-byte Folded Spill
	buffer_store_dword v128, off, s[40:43], 0 offset:1420 ; 4-byte Folded Spill
	;; [unrolled: 1-line block ×3, first 2 shown]
	buffer_load_dword v124, off, s[40:43], 0 offset:1044 ; 4-byte Folded Reload
	v_mul_f64 v[110:111], v[106:107], v[132:133]
	v_fma_f64 v[110:111], v[104:105], v[130:131], -v[110:111]
	v_mul_f64 v[104:105], v[104:105], v[132:133]
	v_fma_f64 v[104:105], v[106:107], v[130:131], v[104:105]
	v_mul_f64 v[106:107], v[102:103], v[128:129]
	v_fma_f64 v[106:107], v[100:101], v[126:127], -v[106:107]
	v_mul_f64 v[100:101], v[100:101], v[128:129]
	v_fma_f64 v[100:101], v[102:103], v[126:127], v[100:101]
	s_waitcnt vmcnt(0)
	v_mul_lo_u16_sdwa v102, v124, s36 dst_sel:DWORD dst_unused:UNUSED_PAD src0_sel:BYTE_0 src1_sel:DWORD
	v_sub_u16_sdwa v103, v124, v102 dst_sel:DWORD dst_unused:UNUSED_PAD src0_sel:DWORD src1_sel:BYTE_1
	v_lshrrev_b16_e32 v103, 1, v103
	v_and_b32_e32 v103, 0x7f, v103
	v_add_u16_sdwa v102, v103, v102 dst_sel:DWORD dst_unused:UNUSED_PAD src0_sel:DWORD src1_sel:BYTE_1
	v_lshrrev_b16_e32 v102, 5, v102
	v_mul_lo_u16_e32 v102, 49, v102
	v_sub_u16_e32 v102, v124, v102
	v_and_b32_e32 v229, 0xff, v102
	v_mad_u64_u32 v[102:103], s[36:37], v229, s35, v[224:225]
	global_load_dwordx4 v[126:129], v[102:103], off offset:720
	global_load_dwordx4 v[174:177], v[102:103], off offset:704
	;; [unrolled: 1-line block ×4, first 2 shown]
	s_movk_i32 s36, 0x4e5f
	s_waitcnt vmcnt(0)
	v_mul_f64 v[124:125], v[98:99], v[166:167]
	v_fma_f64 v[132:133], v[96:97], v[164:165], -v[124:125]
	buffer_store_dword v164, off, s[40:43], 0 offset:1576 ; 4-byte Folded Spill
	s_nop 0
	buffer_store_dword v165, off, s[40:43], 0 offset:1580 ; 4-byte Folded Spill
	buffer_store_dword v166, off, s[40:43], 0 offset:1584 ; 4-byte Folded Spill
	buffer_store_dword v167, off, s[40:43], 0 offset:1588 ; 4-byte Folded Spill
	buffer_store_dword v160, off, s[40:43], 0 offset:1608 ; 4-byte Folded Spill
	s_nop 0
	buffer_store_dword v161, off, s[40:43], 0 offset:1612 ; 4-byte Folded Spill
	buffer_store_dword v162, off, s[40:43], 0 offset:1616 ; 4-byte Folded Spill
	buffer_store_dword v163, off, s[40:43], 0 offset:1620 ; 4-byte Folded Spill
	buffer_store_dword v174, off, s[40:43], 0 offset:1628 ; 4-byte Folded Spill
	s_nop 0
	buffer_store_dword v175, off, s[40:43], 0 offset:1632 ; 4-byte Folded Spill
	buffer_store_dword v176, off, s[40:43], 0 offset:1636 ; 4-byte Folded Spill
	buffer_store_dword v177, off, s[40:43], 0 offset:1640 ; 4-byte Folded Spill
	buffer_store_dword v126, off, s[40:43], 0 offset:1644 ; 4-byte Folded Spill
	s_nop 0
	buffer_store_dword v127, off, s[40:43], 0 offset:1648 ; 4-byte Folded Spill
	buffer_store_dword v128, off, s[40:43], 0 offset:1652 ; 4-byte Folded Spill
	buffer_store_dword v129, off, s[40:43], 0 offset:1656 ; 4-byte Folded Spill
	v_mul_f64 v[96:97], v[96:97], v[166:167]
	v_fma_f64 v[134:135], v[98:99], v[164:165], v[96:97]
	v_mul_f64 v[96:97], v[94:95], v[162:163]
	v_fma_f64 v[164:165], v[92:93], v[160:161], -v[96:97]
	v_mul_f64 v[92:93], v[92:93], v[162:163]
	v_fma_f64 v[160:161], v[94:95], v[160:161], v[92:93]
	v_mul_f64 v[92:93], v[90:91], v[176:177]
	v_fma_f64 v[166:167], v[88:89], v[174:175], -v[92:93]
	;; [unrolled: 4-line block ×3, first 2 shown]
	v_mul_f64 v[84:85], v[84:85], v[128:129]
	v_fma_f64 v[138:139], v[86:87], v[126:127], v[84:85]
	global_load_dwordx4 v[86:89], v[102:103], off offset:752
	global_load_dwordx4 v[90:93], v[102:103], off offset:736
	v_add_f64 v[102:103], v[112:113], v[108:109]
	s_waitcnt vmcnt(0)
	v_mul_f64 v[84:85], v[82:83], v[92:93]
	v_fma_f64 v[128:129], v[80:81], v[90:91], -v[84:85]
	buffer_store_dword v90, off, s[40:43], 0 offset:1692 ; 4-byte Folded Spill
	s_nop 0
	buffer_store_dword v91, off, s[40:43], 0 offset:1696 ; 4-byte Folded Spill
	buffer_store_dword v92, off, s[40:43], 0 offset:1700 ; 4-byte Folded Spill
	buffer_store_dword v93, off, s[40:43], 0 offset:1704 ; 4-byte Folded Spill
	buffer_store_dword v86, off, s[40:43], 0 offset:1708 ; 4-byte Folded Spill
	s_nop 0
	buffer_store_dword v87, off, s[40:43], 0 offset:1712 ; 4-byte Folded Spill
	buffer_store_dword v88, off, s[40:43], 0 offset:1716 ; 4-byte Folded Spill
	;; [unrolled: 1-line block ×3, first 2 shown]
	v_mul_f64 v[80:81], v[80:81], v[92:93]
	v_fma_f64 v[126:127], v[82:83], v[90:91], v[80:81]
	v_mul_f64 v[80:81], v[78:79], v[88:89]
	v_fma_f64 v[124:125], v[76:77], v[86:87], -v[80:81]
	v_mul_f64 v[76:77], v[76:77], v[88:89]
	v_mov_b32_e32 v80, s11
	s_movk_i32 s11, 0x1540
	v_fma_f64 v[146:147], v[78:79], v[86:87], v[76:77]
	buffer_load_dword v78, off, s[40:43], 0 offset:1060 ; 4-byte Folded Reload
	s_waitcnt vmcnt(0)
	v_mul_u32_u24_sdwa v76, v78, s36 dst_sel:DWORD dst_unused:UNUSED_PAD src0_sel:WORD_0 src1_sel:DWORD
	v_sub_u16_sdwa v77, v78, v76 dst_sel:DWORD dst_unused:UNUSED_PAD src0_sel:DWORD src1_sel:WORD_1
	v_lshrrev_b16_e32 v77, 1, v77
	v_add_u16_sdwa v76, v77, v76 dst_sel:DWORD dst_unused:UNUSED_PAD src0_sel:DWORD src1_sel:WORD_1
	v_lshrrev_b16_e32 v76, 5, v76
	v_mul_lo_u16_e32 v76, 49, v76
	v_sub_u16_e32 v230, v78, v76
	v_mul_lo_u16_e32 v76, 0x60, v230
	v_add_co_u32_e32 v76, vcc, s10, v76
	v_addc_co_u32_e32 v77, vcc, 0, v80, vcc
	global_load_dwordx4 v[81:84], v[76:77], off offset:720
	global_load_dwordx4 v[85:88], v[76:77], off offset:704
	;; [unrolled: 1-line block ×4, first 2 shown]
	s_waitcnt vmcnt(0)
	v_mul_f64 v[78:79], v[74:75], v[95:96]
	v_fma_f64 v[186:187], v[72:73], v[93:94], -v[78:79]
	buffer_store_dword v93, off, s[40:43], 0 offset:1868 ; 4-byte Folded Spill
	s_nop 0
	buffer_store_dword v94, off, s[40:43], 0 offset:1872 ; 4-byte Folded Spill
	buffer_store_dword v95, off, s[40:43], 0 offset:1876 ; 4-byte Folded Spill
	buffer_store_dword v96, off, s[40:43], 0 offset:1880 ; 4-byte Folded Spill
	buffer_store_dword v89, off, s[40:43], 0 offset:1884 ; 4-byte Folded Spill
	s_nop 0
	buffer_store_dword v90, off, s[40:43], 0 offset:1888 ; 4-byte Folded Spill
	buffer_store_dword v91, off, s[40:43], 0 offset:1892 ; 4-byte Folded Spill
	buffer_store_dword v92, off, s[40:43], 0 offset:1896 ; 4-byte Folded Spill
	;; [unrolled: 5-line block ×4, first 2 shown]
	v_mul_f64 v[72:73], v[72:73], v[95:96]
	v_fma_f64 v[184:185], v[74:75], v[93:94], v[72:73]
	v_mul_f64 v[72:73], v[70:71], v[91:92]
	v_fma_f64 v[190:191], v[68:69], v[89:90], -v[72:73]
	v_mul_f64 v[68:69], v[68:69], v[91:92]
	v_fma_f64 v[188:189], v[70:71], v[89:90], v[68:69]
	v_mul_f64 v[68:69], v[66:67], v[87:88]
	v_fma_f64 v[194:195], v[64:65], v[85:86], -v[68:69]
	;; [unrolled: 4-line block ×3, first 2 shown]
	v_mul_f64 v[60:61], v[60:61], v[83:84]
	v_fma_f64 v[180:181], v[62:63], v[81:82], v[60:61]
	global_load_dwordx4 v[62:65], v[76:77], off offset:752
	global_load_dwordx4 v[66:69], v[76:77], off offset:736
	s_waitcnt vmcnt(0)
	buffer_store_dword v66, off, s[40:43], 0 offset:1996 ; 4-byte Folded Spill
	s_nop 0
	buffer_store_dword v67, off, s[40:43], 0 offset:2000 ; 4-byte Folded Spill
	buffer_store_dword v68, off, s[40:43], 0 offset:2004 ; 4-byte Folded Spill
	;; [unrolled: 1-line block ×4, first 2 shown]
	s_nop 0
	buffer_store_dword v63, off, s[40:43], 0 offset:2016 ; 4-byte Folded Spill
	buffer_store_dword v64, off, s[40:43], 0 offset:2020 ; 4-byte Folded Spill
	;; [unrolled: 1-line block ×3, first 2 shown]
	v_mul_f64 v[60:61], v[58:59], v[68:69]
	v_fma_f64 v[178:179], v[56:57], v[66:67], -v[60:61]
	v_mul_f64 v[56:57], v[56:57], v[68:69]
	v_fma_f64 v[176:177], v[58:59], v[66:67], v[56:57]
	v_mul_f64 v[56:57], v[54:55], v[64:65]
	v_fma_f64 v[174:175], v[52:53], v[62:63], -v[56:57]
	v_mul_f64 v[52:53], v[52:53], v[64:65]
	v_fma_f64 v[170:171], v[54:55], v[62:63], v[52:53]
	buffer_load_dword v54, off, s[40:43], 0 offset:924 ; 4-byte Folded Reload
	s_waitcnt vmcnt(0)
	v_mul_u32_u24_sdwa v52, v54, s36 dst_sel:DWORD dst_unused:UNUSED_PAD src0_sel:WORD_0 src1_sel:DWORD
	v_sub_u16_sdwa v53, v54, v52 dst_sel:DWORD dst_unused:UNUSED_PAD src0_sel:DWORD src1_sel:WORD_1
	v_lshrrev_b16_e32 v53, 1, v53
	v_add_u16_sdwa v52, v53, v52 dst_sel:DWORD dst_unused:UNUSED_PAD src0_sel:DWORD src1_sel:WORD_1
	v_lshrrev_b16_e32 v52, 5, v52
	v_mul_lo_u16_e32 v52, 49, v52
	v_sub_u16_e32 v231, v54, v52
	v_mul_lo_u16_e32 v52, 0x60, v231
	v_add_co_u32_e32 v52, vcc, s10, v52
	v_addc_co_u32_e32 v53, vcc, 0, v80, vcc
	global_load_dwordx4 v[56:59], v[52:53], off offset:720
	global_load_dwordx4 v[60:63], v[52:53], off offset:704
	;; [unrolled: 1-line block ×4, first 2 shown]
	s_movk_i32 s10, 0x1500
	s_waitcnt vmcnt(0) lgkmcnt(5)
	v_mul_f64 v[54:55], v[42:43], v[70:71]
	v_fma_f64 v[54:55], v[40:41], v[68:69], -v[54:55]
	buffer_store_dword v54, off, s[40:43], 0 offset:1044 ; 4-byte Folded Spill
	s_nop 0
	buffer_store_dword v55, off, s[40:43], 0 offset:1048 ; 4-byte Folded Spill
	buffer_store_dword v68, off, s[40:43], 0 offset:2164 ; 4-byte Folded Spill
	s_nop 0
	buffer_store_dword v69, off, s[40:43], 0 offset:2168 ; 4-byte Folded Spill
	buffer_store_dword v70, off, s[40:43], 0 offset:2172 ; 4-byte Folded Spill
	;; [unrolled: 1-line block ×3, first 2 shown]
	v_mul_f64 v[40:41], v[40:41], v[70:71]
	v_fma_f64 v[40:41], v[42:43], v[68:69], v[40:41]
	buffer_store_dword v40, off, s[40:43], 0 offset:1060 ; 4-byte Folded Spill
	s_nop 0
	buffer_store_dword v41, off, s[40:43], 0 offset:1064 ; 4-byte Folded Spill
	buffer_store_dword v64, off, s[40:43], 0 offset:2180 ; 4-byte Folded Spill
	s_nop 0
	buffer_store_dword v65, off, s[40:43], 0 offset:2184 ; 4-byte Folded Spill
	buffer_store_dword v66, off, s[40:43], 0 offset:2188 ; 4-byte Folded Spill
	;; [unrolled: 1-line block ×3, first 2 shown]
	s_waitcnt lgkmcnt(4)
	v_mul_f64 v[40:41], v[38:39], v[66:67]
	v_fma_f64 v[40:41], v[36:37], v[64:65], -v[40:41]
	v_mul_f64 v[36:37], v[36:37], v[66:67]
	buffer_store_dword v40, off, s[40:43], 0 offset:924 ; 4-byte Folded Spill
	s_nop 0
	buffer_store_dword v41, off, s[40:43], 0 offset:928 ; 4-byte Folded Spill
	v_fma_f64 v[36:37], v[38:39], v[64:65], v[36:37]
	buffer_store_dword v36, off, s[40:43], 0 offset:1028 ; 4-byte Folded Spill
	s_nop 0
	buffer_store_dword v37, off, s[40:43], 0 offset:1032 ; 4-byte Folded Spill
	buffer_store_dword v60, off, s[40:43], 0 offset:2196 ; 4-byte Folded Spill
	s_nop 0
	buffer_store_dword v61, off, s[40:43], 0 offset:2200 ; 4-byte Folded Spill
	buffer_store_dword v62, off, s[40:43], 0 offset:2204 ; 4-byte Folded Spill
	;; [unrolled: 1-line block ×4, first 2 shown]
	s_nop 0
	buffer_store_dword v57, off, s[40:43], 0 offset:2216 ; 4-byte Folded Spill
	buffer_store_dword v58, off, s[40:43], 0 offset:2220 ; 4-byte Folded Spill
	;; [unrolled: 1-line block ×3, first 2 shown]
	s_waitcnt lgkmcnt(3)
	v_mul_f64 v[36:37], v[34:35], v[62:63]
	v_fma_f64 v[232:233], v[32:33], v[60:61], -v[36:37]
	v_mul_f64 v[32:33], v[32:33], v[62:63]
	v_fma_f64 v[234:235], v[34:35], v[60:61], v[32:33]
	s_waitcnt lgkmcnt(2)
	v_mul_f64 v[32:33], v[30:31], v[58:59]
	v_fma_f64 v[32:33], v[28:29], v[56:57], -v[32:33]
	v_mul_f64 v[28:29], v[28:29], v[58:59]
	buffer_store_dword v32, off, s[40:43], 0 offset:1172 ; 4-byte Folded Spill
	s_nop 0
	buffer_store_dword v33, off, s[40:43], 0 offset:1176 ; 4-byte Folded Spill
	v_fma_f64 v[28:29], v[30:31], v[56:57], v[28:29]
	buffer_store_dword v28, off, s[40:43], 0 offset:1252 ; 4-byte Folded Spill
	s_nop 0
	buffer_store_dword v29, off, s[40:43], 0 offset:1256 ; 4-byte Folded Spill
	global_load_dwordx4 v[30:33], v[52:53], off offset:752
	global_load_dwordx4 v[34:37], v[52:53], off offset:736
	s_waitcnt vmcnt(0)
	buffer_store_dword v34, off, s[40:43], 0 offset:2296 ; 4-byte Folded Spill
	s_nop 0
	buffer_store_dword v35, off, s[40:43], 0 offset:2300 ; 4-byte Folded Spill
	buffer_store_dword v36, off, s[40:43], 0 offset:2304 ; 4-byte Folded Spill
	;; [unrolled: 1-line block ×3, first 2 shown]
	s_waitcnt lgkmcnt(1)
	v_mul_f64 v[28:29], v[26:27], v[36:37]
	v_fma_f64 v[28:29], v[24:25], v[34:35], -v[28:29]
	v_mul_f64 v[24:25], v[24:25], v[36:37]
	buffer_store_dword v28, off, s[40:43], 0 offset:1444 ; 4-byte Folded Spill
	s_nop 0
	buffer_store_dword v29, off, s[40:43], 0 offset:1448 ; 4-byte Folded Spill
	v_fma_f64 v[24:25], v[26:27], v[34:35], v[24:25]
	buffer_store_dword v24, off, s[40:43], 0 offset:1460 ; 4-byte Folded Spill
	s_nop 0
	buffer_store_dword v25, off, s[40:43], 0 offset:1464 ; 4-byte Folded Spill
	buffer_store_dword v30, off, s[40:43], 0 offset:2312 ; 4-byte Folded Spill
	s_nop 0
	buffer_store_dword v31, off, s[40:43], 0 offset:2316 ; 4-byte Folded Spill
	buffer_store_dword v32, off, s[40:43], 0 offset:2320 ; 4-byte Folded Spill
	buffer_store_dword v33, off, s[40:43], 0 offset:2324 ; 4-byte Folded Spill
	v_add_f64 v[26:27], v[46:47], v[6:7]
	v_add_f64 v[6:7], v[6:7], -v[46:47]
	s_waitcnt lgkmcnt(0)
	v_mul_f64 v[24:25], v[22:23], v[32:33]
	v_fma_f64 v[24:25], v[20:21], v[30:31], -v[24:25]
	v_mul_f64 v[20:21], v[20:21], v[32:33]
	buffer_store_dword v24, off, s[40:43], 0 offset:1480 ; 4-byte Folded Spill
	s_nop 0
	buffer_store_dword v25, off, s[40:43], 0 offset:1484 ; 4-byte Folded Spill
	v_fma_f64 v[20:21], v[22:23], v[30:31], v[20:21]
	buffer_store_dword v20, off, s[40:43], 0 offset:1560 ; 4-byte Folded Spill
	s_nop 0
	buffer_store_dword v21, off, s[40:43], 0 offset:1564 ; 4-byte Folded Spill
	v_add_f64 v[20:21], v[12:13], v[0:1]
	v_add_f64 v[22:23], v[10:11], v[50:51]
	v_add_f64 v[0:1], v[12:13], -v[0:1]
	v_add_f64 v[12:13], v[44:45], v[4:5]
	v_add_f64 v[24:25], v[14:15], v[2:3]
	v_add_f64 v[4:5], v[44:45], -v[4:5]
	v_add_f64 v[2:3], v[14:15], -v[2:3]
	v_add_f64 v[14:15], v[48:49], v[8:9]
	v_add_f64 v[8:9], v[8:9], -v[48:49]
	v_add_f64 v[10:11], v[10:11], -v[50:51]
	;; [unrolled: 1-line block ×3, first 2 shown]
	v_add_f64 v[28:29], v[12:13], v[20:21]
	v_add_f64 v[30:31], v[24:25], v[22:23]
	v_add_f64 v[32:33], v[12:13], -v[20:21]
	v_add_f64 v[34:35], v[24:25], -v[22:23]
	;; [unrolled: 1-line block ×6, first 2 shown]
	v_add_f64 v[36:37], v[8:9], v[4:5]
	v_add_f64 v[38:39], v[6:7], v[2:3]
	v_add_f64 v[40:41], v[8:9], -v[4:5]
	v_add_f64 v[42:43], v[6:7], -v[2:3]
	;; [unrolled: 1-line block ×3, first 2 shown]
	v_add_f64 v[14:15], v[14:15], v[28:29]
	v_add_f64 v[26:27], v[26:27], v[30:31]
	v_add_f64 v[8:9], v[0:1], -v[8:9]
	v_add_f64 v[6:7], v[10:11], -v[6:7]
	;; [unrolled: 1-line block ×3, first 2 shown]
	v_add_f64 v[0:1], v[36:37], v[0:1]
	v_add_f64 v[10:11], v[38:39], v[10:11]
	v_mul_f64 v[20:21], v[20:21], s[26:27]
	v_add_f64 v[16:17], v[16:17], v[14:15]
	v_add_f64 v[18:19], v[18:19], v[26:27]
	v_mul_f64 v[22:23], v[22:23], s[26:27]
	v_mul_f64 v[28:29], v[12:13], s[6:7]
	;; [unrolled: 1-line block ×7, first 2 shown]
	v_fma_f64 v[14:15], v[14:15], s[18:19], v[16:17]
	v_fma_f64 v[26:27], v[26:27], s[18:19], v[18:19]
	;; [unrolled: 1-line block ×4, first 2 shown]
	v_fma_f64 v[28:29], v[32:33], s[14:15], -v[28:29]
	v_fma_f64 v[30:31], v[34:35], s[14:15], -v[30:31]
	;; [unrolled: 1-line block ×4, first 2 shown]
	v_fma_f64 v[32:33], v[8:9], s[8:9], v[36:37]
	v_fma_f64 v[4:5], v[4:5], s[24:25], -v[36:37]
	v_fma_f64 v[2:3], v[2:3], s[24:25], -v[38:39]
	v_fma_f64 v[8:9], v[8:9], s[22:23], v[40:41]
	v_fma_f64 v[34:35], v[6:7], s[8:9], v[38:39]
	;; [unrolled: 1-line block ×3, first 2 shown]
	v_add_f64 v[36:37], v[28:29], v[14:15]
	v_add_f64 v[38:39], v[30:31], v[26:27]
	;; [unrolled: 1-line block ×3, first 2 shown]
	v_fma_f64 v[44:45], v[0:1], s[2:3], v[32:33]
	v_fma_f64 v[4:5], v[0:1], s[2:3], v[4:5]
	;; [unrolled: 1-line block ×4, first 2 shown]
	v_add_f64 v[12:13], v[12:13], v[14:15]
	v_add_f64 v[42:43], v[24:25], v[26:27]
	;; [unrolled: 1-line block ×3, first 2 shown]
	v_fma_f64 v[46:47], v[10:11], s[2:3], v[34:35]
	v_fma_f64 v[6:7], v[10:11], s[2:3], v[6:7]
	v_add_f64 v[30:31], v[4:5], v[38:39]
	v_add_f64 v[28:29], v[36:37], -v[2:3]
	v_add_f64 v[22:23], v[40:41], -v[0:1]
	v_add_f64 v[32:33], v[2:3], v[36:37]
	v_add_f64 v[34:35], v[38:39], -v[4:5]
	v_add_f64 v[38:39], v[0:1], v[40:41]
	v_add_f64 v[0:1], v[172:173], v[152:153]
	;; [unrolled: 1-line block ×6, first 2 shown]
	v_add_f64 v[26:27], v[42:43], -v[44:45]
	v_add_f64 v[20:21], v[6:7], v[14:15]
	v_add_f64 v[36:37], v[14:15], -v[6:7]
	v_add_f64 v[40:41], v[12:13], -v[46:47]
	v_add_f64 v[42:43], v[44:45], v[42:43]
	v_add_f64 v[4:5], v[172:173], -v[152:153]
	v_add_f64 v[6:7], v[168:169], -v[148:149]
	;; [unrolled: 1-line block ×4, first 2 shown]
	v_add_f64 v[44:45], v[204:205], v[254:255]
	v_add_f64 v[46:47], v[206:207], v[158:159]
	v_add_f64 v[50:51], v[158:159], -v[206:207]
	v_add_f64 v[52:53], v[8:9], v[0:1]
	v_add_f64 v[54:55], v[10:11], v[2:3]
	v_add_f64 v[60:61], v[8:9], -v[0:1]
	v_add_f64 v[62:63], v[10:11], -v[2:3]
	v_add_f64 v[56:57], v[48:49], v[12:13]
	v_add_f64 v[0:1], v[0:1], -v[44:45]
	v_add_f64 v[2:3], v[2:3], -v[46:47]
	;; [unrolled: 1-line block ×4, first 2 shown]
	v_add_f64 v[58:59], v[50:51], v[14:15]
	v_add_f64 v[64:65], v[48:49], -v[12:13]
	v_add_f64 v[66:67], v[50:51], -v[14:15]
	;; [unrolled: 1-line block ×4, first 2 shown]
	v_add_f64 v[44:45], v[44:45], v[52:53]
	v_add_f64 v[46:47], v[46:47], v[54:55]
	v_add_f64 v[48:49], v[4:5], -v[48:49]
	v_add_f64 v[50:51], v[6:7], -v[50:51]
	v_add_f64 v[4:5], v[56:57], v[4:5]
	v_add_f64 v[6:7], v[58:59], v[6:7]
	v_mul_f64 v[0:1], v[0:1], s[26:27]
	v_mul_f64 v[2:3], v[2:3], s[26:27]
	v_add_f64 v[56:57], v[220:221], v[44:45]
	v_add_f64 v[58:59], v[222:223], v[46:47]
	v_mul_f64 v[52:53], v[8:9], s[6:7]
	v_mul_f64 v[54:55], v[10:11], s[6:7]
	;; [unrolled: 1-line block ×6, first 2 shown]
	v_fma_f64 v[44:45], v[44:45], s[18:19], v[56:57]
	v_fma_f64 v[46:47], v[46:47], s[18:19], v[58:59]
	;; [unrolled: 1-line block ×4, first 2 shown]
	v_fma_f64 v[52:53], v[60:61], s[14:15], -v[52:53]
	v_fma_f64 v[54:55], v[62:63], s[14:15], -v[54:55]
	;; [unrolled: 1-line block ×4, first 2 shown]
	v_fma_f64 v[60:61], v[48:49], s[8:9], v[64:65]
	v_fma_f64 v[62:63], v[50:51], s[8:9], v[66:67]
	v_fma_f64 v[12:13], v[12:13], s[24:25], -v[64:65]
	v_fma_f64 v[14:15], v[14:15], s[24:25], -v[66:67]
	v_fma_f64 v[48:49], v[48:49], s[22:23], v[68:69]
	v_fma_f64 v[50:51], v[50:51], s[22:23], v[70:71]
	v_add_f64 v[8:9], v[8:9], v[44:45]
	v_add_f64 v[10:11], v[10:11], v[46:47]
	;; [unrolled: 1-line block ×6, first 2 shown]
	v_fma_f64 v[44:45], v[4:5], s[2:3], v[60:61]
	v_fma_f64 v[46:47], v[6:7], s[2:3], v[62:63]
	;; [unrolled: 1-line block ×6, first 2 shown]
	v_add_f64 v[156:157], v[194:195], v[182:183]
	v_add_f64 v[158:159], v[192:193], v[180:181]
	v_add_f64 v[66:67], v[10:11], -v[44:45]
	v_add_f64 v[64:65], v[46:47], v[8:9]
	v_add_f64 v[92:93], v[8:9], -v[46:47]
	;; [unrolled: 2-line block ×4, first 2 shown]
	v_add_f64 v[82:83], v[4:5], v[2:3]
	v_add_f64 v[0:1], v[150:151], v[246:247]
	;; [unrolled: 1-line block ×5, first 2 shown]
	v_add_f64 v[68:69], v[52:53], -v[14:15]
	v_add_f64 v[70:71], v[12:13], v[54:55]
	v_add_f64 v[72:73], v[14:15], v[52:53]
	v_add_f64 v[74:75], v[54:55], -v[12:13]
	v_add_f64 v[4:5], v[150:151], -v[246:247]
	;; [unrolled: 1-line block ×5, first 2 shown]
	v_add_f64 v[44:45], v[142:143], v[238:239]
	v_add_f64 v[46:47], v[136:137], v[240:241]
	v_add_f64 v[52:53], v[238:239], -v[142:143]
	v_add_f64 v[54:55], v[240:241], -v[136:137]
	v_add_f64 v[60:61], v[8:9], v[0:1]
	v_add_f64 v[62:63], v[10:11], v[2:3]
	v_add_f64 v[76:77], v[8:9], -v[0:1]
	v_add_f64 v[78:79], v[10:11], -v[2:3]
	;; [unrolled: 1-line block ×6, first 2 shown]
	v_add_f64 v[84:85], v[52:53], v[12:13]
	v_add_f64 v[86:87], v[54:55], v[14:15]
	v_add_f64 v[88:89], v[52:53], -v[12:13]
	v_add_f64 v[90:91], v[54:55], -v[14:15]
	;; [unrolled: 1-line block ×4, first 2 shown]
	v_add_f64 v[60:61], v[44:45], v[60:61]
	v_add_f64 v[62:63], v[46:47], v[62:63]
	v_add_f64 v[52:53], v[4:5], -v[52:53]
	v_add_f64 v[54:55], v[6:7], -v[54:55]
	v_add_f64 v[4:5], v[84:85], v[4:5]
	v_add_f64 v[6:7], v[86:87], v[6:7]
	v_mul_f64 v[0:1], v[0:1], s[26:27]
	v_mul_f64 v[2:3], v[2:3], s[26:27]
	v_add_f64 v[44:45], v[200:201], v[60:61]
	v_add_f64 v[46:47], v[202:203], v[62:63]
	v_mul_f64 v[84:85], v[8:9], s[6:7]
	v_mul_f64 v[86:87], v[10:11], s[6:7]
	;; [unrolled: 1-line block ×6, first 2 shown]
	v_fma_f64 v[60:61], v[60:61], s[18:19], v[44:45]
	v_fma_f64 v[62:63], v[62:63], s[18:19], v[46:47]
	;; [unrolled: 1-line block ×4, first 2 shown]
	v_fma_f64 v[84:85], v[76:77], s[14:15], -v[84:85]
	v_fma_f64 v[86:87], v[78:79], s[14:15], -v[86:87]
	;; [unrolled: 1-line block ×4, first 2 shown]
	v_fma_f64 v[76:77], v[52:53], s[8:9], v[88:89]
	v_fma_f64 v[78:79], v[54:55], s[8:9], v[90:91]
	v_fma_f64 v[12:13], v[12:13], s[24:25], -v[88:89]
	v_fma_f64 v[14:15], v[14:15], s[24:25], -v[90:91]
	v_fma_f64 v[52:53], v[52:53], s[22:23], v[96:97]
	v_fma_f64 v[54:55], v[54:55], s[22:23], v[98:99]
	v_add_f64 v[8:9], v[8:9], v[60:61]
	v_add_f64 v[10:11], v[10:11], v[62:63]
	;; [unrolled: 1-line block ×4, first 2 shown]
	v_fma_f64 v[98:99], v[4:5], s[2:3], v[76:77]
	v_fma_f64 v[96:97], v[6:7], s[2:3], v[78:79]
	;; [unrolled: 1-line block ×6, first 2 shown]
	v_add_f64 v[84:85], v[84:85], v[60:61]
	v_add_f64 v[86:87], v[86:87], v[62:63]
	v_add_f64 v[62:63], v[10:11], -v[98:99]
	v_add_f64 v[60:61], v[96:97], v[8:9]
	v_add_f64 v[96:97], v[8:9], -v[96:97]
	;; [unrolled: 2-line block ×4, first 2 shown]
	v_add_f64 v[90:91], v[4:5], v[2:3]
	v_add_f64 v[0:1], v[198:199], v[106:107]
	;; [unrolled: 1-line block ×5, first 2 shown]
	v_add_f64 v[76:77], v[84:85], -v[14:15]
	v_add_f64 v[78:79], v[12:13], v[86:87]
	v_add_f64 v[84:85], v[14:15], v[84:85]
	v_add_f64 v[86:87], v[86:87], -v[12:13]
	v_add_f64 v[4:5], v[198:199], -v[106:107]
	;; [unrolled: 1-line block ×5, first 2 shown]
	v_add_f64 v[100:101], v[116:117], v[114:115]
	v_add_f64 v[104:105], v[114:115], -v[116:117]
	v_add_f64 v[106:107], v[108:109], -v[112:113]
	v_add_f64 v[108:109], v[8:9], v[0:1]
	v_add_f64 v[110:111], v[10:11], v[2:3]
	v_add_f64 v[112:113], v[8:9], -v[0:1]
	v_add_f64 v[114:115], v[10:11], -v[2:3]
	;; [unrolled: 1-line block ×6, first 2 shown]
	v_add_f64 v[116:117], v[104:105], v[12:13]
	v_add_f64 v[118:119], v[106:107], v[14:15]
	v_add_f64 v[120:121], v[104:105], -v[12:13]
	v_add_f64 v[122:123], v[106:107], -v[14:15]
	;; [unrolled: 1-line block ×4, first 2 shown]
	v_add_f64 v[100:101], v[100:101], v[108:109]
	v_add_f64 v[102:103], v[102:103], v[110:111]
	v_add_f64 v[104:105], v[4:5], -v[104:105]
	v_add_f64 v[106:107], v[6:7], -v[106:107]
	v_add_f64 v[4:5], v[116:117], v[4:5]
	v_add_f64 v[6:7], v[118:119], v[6:7]
	v_mul_f64 v[0:1], v[0:1], s[26:27]
	v_mul_f64 v[2:3], v[2:3], s[26:27]
	v_add_f64 v[12:13], v[208:209], v[100:101]
	v_add_f64 v[14:15], v[210:211], v[102:103]
	v_mul_f64 v[108:109], v[8:9], s[6:7]
	v_mul_f64 v[110:111], v[10:11], s[6:7]
	;; [unrolled: 1-line block ×6, first 2 shown]
	v_fma_f64 v[100:101], v[100:101], s[18:19], v[12:13]
	v_fma_f64 v[102:103], v[102:103], s[18:19], v[14:15]
	;; [unrolled: 1-line block ×4, first 2 shown]
	v_fma_f64 v[108:109], v[112:113], s[14:15], -v[108:109]
	v_fma_f64 v[110:111], v[114:115], s[14:15], -v[110:111]
	v_fma_f64 v[0:1], v[112:113], s[16:17], -v[0:1]
	v_fma_f64 v[2:3], v[114:115], s[16:17], -v[2:3]
	v_fma_f64 v[112:113], v[104:105], s[8:9], v[116:117]
	v_fma_f64 v[114:115], v[106:107], s[8:9], v[118:119]
	v_fma_f64 v[116:117], v[136:137], s[24:25], -v[116:117]
	v_fma_f64 v[118:119], v[140:141], s[24:25], -v[118:119]
	v_fma_f64 v[104:105], v[104:105], s[22:23], v[120:121]
	v_fma_f64 v[106:107], v[106:107], s[22:23], v[122:123]
	v_add_f64 v[8:9], v[8:9], v[100:101]
	v_add_f64 v[10:11], v[10:11], v[102:103]
	;; [unrolled: 1-line block ×6, first 2 shown]
	v_fma_f64 v[136:137], v[4:5], s[2:3], v[112:113]
	v_fma_f64 v[140:141], v[6:7], s[2:3], v[114:115]
	;; [unrolled: 1-line block ×6, first 2 shown]
	v_add_f64 v[106:107], v[10:11], -v[136:137]
	v_add_f64 v[104:105], v[140:141], v[8:9]
	v_add_f64 v[110:111], v[114:115], v[122:123]
	v_add_f64 v[108:109], v[120:121], -v[112:113]
	v_add_f64 v[102:103], v[2:3], -v[4:5]
	v_add_f64 v[100:101], v[6:7], v[0:1]
	v_add_f64 v[112:113], v[112:113], v[120:121]
	v_add_f64 v[114:115], v[122:123], -v[114:115]
	v_add_f64 v[116:117], v[0:1], -v[6:7]
	v_add_f64 v[118:119], v[4:5], v[2:3]
	v_add_f64 v[120:121], v[8:9], -v[140:141]
	v_add_f64 v[122:123], v[136:137], v[10:11]
	v_add_f64 v[0:1], v[132:133], v[124:125]
	;; [unrolled: 1-line block ×5, first 2 shown]
	v_add_f64 v[4:5], v[132:133], -v[124:125]
	v_add_f64 v[6:7], v[134:135], -v[146:147]
	;; [unrolled: 1-line block ×4, first 2 shown]
	v_add_f64 v[128:129], v[166:167], v[130:131]
	v_add_f64 v[132:133], v[162:163], v[138:139]
	v_add_f64 v[130:131], v[130:131], -v[166:167]
	v_add_f64 v[134:135], v[138:139], -v[162:163]
	v_add_f64 v[136:137], v[8:9], v[0:1]
	v_add_f64 v[138:139], v[10:11], v[2:3]
	v_add_f64 v[140:141], v[8:9], -v[0:1]
	v_add_f64 v[142:143], v[10:11], -v[2:3]
	;; [unrolled: 1-line block ×6, first 2 shown]
	v_add_f64 v[8:9], v[130:131], v[124:125]
	v_add_f64 v[10:11], v[134:135], v[126:127]
	v_add_f64 v[148:149], v[130:131], -v[124:125]
	v_add_f64 v[150:151], v[134:135], -v[126:127]
	;; [unrolled: 1-line block ×4, first 2 shown]
	v_add_f64 v[128:129], v[128:129], v[136:137]
	v_add_f64 v[132:133], v[132:133], v[138:139]
	v_add_f64 v[130:131], v[4:5], -v[130:131]
	v_add_f64 v[134:135], v[6:7], -v[134:135]
	v_add_f64 v[4:5], v[8:9], v[4:5]
	v_add_f64 v[6:7], v[10:11], v[6:7]
	v_mul_f64 v[0:1], v[0:1], s[26:27]
	v_mul_f64 v[2:3], v[2:3], s[26:27]
	v_add_f64 v[8:9], v[212:213], v[128:129]
	v_add_f64 v[10:11], v[214:215], v[132:133]
	v_mul_f64 v[136:137], v[144:145], s[6:7]
	v_mul_f64 v[138:139], v[146:147], s[6:7]
	;; [unrolled: 1-line block ×6, first 2 shown]
	v_fma_f64 v[128:129], v[128:129], s[18:19], v[8:9]
	v_fma_f64 v[132:133], v[132:133], s[18:19], v[10:11]
	v_fma_f64 v[144:145], v[144:145], s[6:7], v[0:1]
	v_fma_f64 v[146:147], v[146:147], s[6:7], v[2:3]
	v_fma_f64 v[136:137], v[140:141], s[14:15], -v[136:137]
	v_fma_f64 v[138:139], v[142:143], s[14:15], -v[138:139]
	;; [unrolled: 1-line block ×4, first 2 shown]
	v_fma_f64 v[140:141], v[130:131], s[8:9], v[148:149]
	v_fma_f64 v[142:143], v[134:135], s[8:9], v[150:151]
	v_fma_f64 v[124:125], v[124:125], s[24:25], -v[148:149]
	v_fma_f64 v[126:127], v[126:127], s[24:25], -v[150:151]
	v_fma_f64 v[130:131], v[130:131], s[22:23], v[152:153]
	v_fma_f64 v[134:135], v[134:135], s[22:23], v[154:155]
	v_add_f64 v[144:145], v[144:145], v[128:129]
	v_add_f64 v[146:147], v[146:147], v[132:133]
	;; [unrolled: 1-line block ×6, first 2 shown]
	v_fma_f64 v[148:149], v[4:5], s[2:3], v[140:141]
	v_fma_f64 v[150:151], v[6:7], s[2:3], v[142:143]
	;; [unrolled: 1-line block ×6, first 2 shown]
	v_add_f64 v[152:153], v[190:191], -v[178:179]
	v_add_f64 v[154:155], v[188:189], -v[176:177]
	;; [unrolled: 1-line block ×3, first 2 shown]
	v_add_f64 v[128:129], v[150:151], v[144:145]
	v_add_f64 v[134:135], v[140:141], v[138:139]
	v_add_f64 v[132:133], v[136:137], -v[142:143]
	v_add_f64 v[126:127], v[2:3], -v[4:5]
	v_add_f64 v[124:125], v[6:7], v[0:1]
	v_add_f64 v[136:137], v[142:143], v[136:137]
	v_add_f64 v[138:139], v[138:139], -v[140:141]
	v_add_f64 v[140:141], v[0:1], -v[6:7]
	v_add_f64 v[142:143], v[4:5], v[2:3]
	v_add_f64 v[144:145], v[144:145], -v[150:151]
	v_add_f64 v[146:147], v[148:149], v[146:147]
	v_add_f64 v[0:1], v[186:187], v[174:175]
	;; [unrolled: 1-line block ×5, first 2 shown]
	v_add_f64 v[4:5], v[186:187], -v[174:175]
	v_add_f64 v[160:161], v[182:183], -v[194:195]
	;; [unrolled: 1-line block ×4, first 2 shown]
	v_add_f64 v[164:165], v[148:149], v[0:1]
	v_add_f64 v[166:167], v[150:151], v[2:3]
	v_add_f64 v[168:169], v[148:149], -v[0:1]
	v_add_f64 v[170:171], v[150:151], -v[2:3]
	;; [unrolled: 1-line block ×6, first 2 shown]
	v_add_f64 v[172:173], v[160:161], v[152:153]
	v_add_f64 v[174:175], v[162:163], v[154:155]
	v_add_f64 v[176:177], v[160:161], -v[152:153]
	v_add_f64 v[178:179], v[162:163], -v[154:155]
	;; [unrolled: 1-line block ×3, first 2 shown]
	v_add_f64 v[156:157], v[156:157], v[164:165]
	v_add_f64 v[158:159], v[158:159], v[166:167]
	v_add_f64 v[160:161], v[4:5], -v[160:161]
	v_add_f64 v[162:163], v[6:7], -v[162:163]
	v_add_f64 v[154:155], v[154:155], -v[6:7]
	v_add_f64 v[164:165], v[172:173], v[4:5]
	v_add_f64 v[166:167], v[174:175], v[6:7]
	v_mul_f64 v[0:1], v[0:1], s[26:27]
	v_add_f64 v[4:5], v[216:217], v[156:157]
	v_add_f64 v[6:7], v[218:219], v[158:159]
	v_mul_f64 v[2:3], v[2:3], s[26:27]
	v_mul_f64 v[172:173], v[148:149], s[6:7]
	;; [unrolled: 1-line block ×7, first 2 shown]
	v_fma_f64 v[156:157], v[156:157], s[18:19], v[4:5]
	v_fma_f64 v[158:159], v[158:159], s[18:19], v[6:7]
	;; [unrolled: 1-line block ×4, first 2 shown]
	v_fma_f64 v[172:173], v[168:169], s[14:15], -v[172:173]
	v_fma_f64 v[174:175], v[170:171], s[14:15], -v[174:175]
	;; [unrolled: 1-line block ×4, first 2 shown]
	v_fma_f64 v[168:169], v[160:161], s[8:9], v[176:177]
	v_fma_f64 v[170:171], v[162:163], s[8:9], v[178:179]
	v_fma_f64 v[152:153], v[152:153], s[24:25], -v[176:177]
	v_fma_f64 v[154:155], v[154:155], s[24:25], -v[178:179]
	v_fma_f64 v[160:161], v[160:161], s[22:23], v[180:181]
	v_fma_f64 v[162:163], v[162:163], s[22:23], v[182:183]
	v_add_f64 v[176:177], v[148:149], v[156:157]
	v_add_f64 v[178:179], v[150:151], v[158:159]
	;; [unrolled: 1-line block ×5, first 2 shown]
	v_fma_f64 v[180:181], v[164:165], s[2:3], v[168:169]
	v_fma_f64 v[168:169], v[166:167], s[2:3], v[170:171]
	v_fma_f64 v[170:171], v[164:165], s[2:3], v[152:153]
	v_fma_f64 v[182:183], v[166:167], s[2:3], v[154:155]
	v_fma_f64 v[184:185], v[164:165], s[2:3], v[160:161]
	v_add_f64 v[0:1], v[0:1], v[156:157]
	v_fma_f64 v[164:165], v[166:167], s[2:3], v[162:163]
	v_add_f64 v[154:155], v[178:179], -v[180:181]
	v_add_f64 v[152:153], v[168:169], v[176:177]
	v_add_f64 v[158:159], v[170:171], v[174:175]
	v_add_f64 v[156:157], v[172:173], -v[182:183]
	v_add_f64 v[150:151], v[2:3], -v[184:185]
	v_add_f64 v[160:161], v[182:183], v[172:173]
	v_add_f64 v[162:163], v[174:175], -v[170:171]
	v_add_f64 v[166:167], v[184:185], v[2:3]
	;; [unrolled: 2-line block ×3, first 2 shown]
	buffer_load_dword v172, off, s[40:43], 0 offset:1044 ; 4-byte Folded Reload
	buffer_load_dword v173, off, s[40:43], 0 offset:1048 ; 4-byte Folded Reload
	;; [unrolled: 1-line block ×20, first 2 shown]
	v_add_f64 v[148:149], v[164:165], v[0:1]
	v_add_f64 v[164:165], v[0:1], -v[164:165]
	s_waitcnt vmcnt(16)
	v_add_f64 v[0:1], v[172:173], v[176:177]
	s_waitcnt vmcnt(12)
	v_add_f64 v[2:3], v[174:175], v[178:179]
	v_add_f64 v[172:173], v[172:173], -v[176:177]
	v_add_f64 v[174:175], v[174:175], -v[178:179]
	s_waitcnt vmcnt(8)
	v_add_f64 v[176:177], v[180:181], v[184:185]
	s_waitcnt vmcnt(4)
	v_add_f64 v[178:179], v[182:183], v[186:187]
	v_add_f64 v[180:181], v[180:181], -v[184:185]
	v_add_f64 v[182:183], v[182:183], -v[186:187]
	s_waitcnt vmcnt(2)
	v_add_f64 v[184:185], v[232:233], v[188:189]
	s_waitcnt vmcnt(0)
	v_add_f64 v[186:187], v[234:235], v[190:191]
	v_add_f64 v[188:189], v[188:189], -v[232:233]
	v_add_f64 v[190:191], v[190:191], -v[234:235]
	v_add_f64 v[192:193], v[176:177], v[0:1]
	v_add_f64 v[194:195], v[178:179], v[2:3]
	v_add_f64 v[198:199], v[176:177], -v[0:1]
	v_add_f64 v[200:201], v[178:179], -v[2:3]
	;; [unrolled: 1-line block ×4, first 2 shown]
	v_add_f64 v[0:1], v[188:189], v[180:181]
	v_add_f64 v[2:3], v[190:191], v[182:183]
	v_add_f64 v[206:207], v[188:189], -v[180:181]
	v_add_f64 v[208:209], v[190:191], -v[182:183]
	;; [unrolled: 1-line block ×6, first 2 shown]
	v_add_f64 v[172:173], v[0:1], v[172:173]
	v_add_f64 v[174:175], v[2:3], v[174:175]
	buffer_load_dword v0, off, s[40:43], 0 offset:1076 ; 4-byte Folded Reload
	buffer_load_dword v1, off, s[40:43], 0 offset:1080 ; 4-byte Folded Reload
	;; [unrolled: 1-line block ×4, first 2 shown]
	v_add_f64 v[176:177], v[184:185], -v[176:177]
	v_add_f64 v[178:179], v[186:187], -v[178:179]
	v_add_f64 v[184:185], v[184:185], v[192:193]
	v_add_f64 v[186:187], v[186:187], v[194:195]
	v_mul_f64 v[192:193], v[202:203], s[26:27]
	v_mul_f64 v[194:195], v[204:205], s[26:27]
	;; [unrolled: 1-line block ×8, first 2 shown]
	v_fma_f64 v[176:177], v[176:177], s[6:7], v[192:193]
	v_fma_f64 v[178:179], v[178:179], s[6:7], v[194:195]
	v_fma_f64 v[192:193], v[198:199], s[16:17], -v[192:193]
	v_fma_f64 v[194:195], v[200:201], s[16:17], -v[194:195]
	;; [unrolled: 1-line block ×4, first 2 shown]
	v_fma_f64 v[198:199], v[188:189], s[8:9], v[206:207]
	v_fma_f64 v[200:201], v[190:191], s[8:9], v[208:209]
	v_fma_f64 v[188:189], v[188:189], s[22:23], v[210:211]
	v_fma_f64 v[190:191], v[190:191], s[22:23], v[212:213]
	v_fma_f64 v[180:181], v[180:181], s[24:25], -v[206:207]
	v_fma_f64 v[182:183], v[182:183], s[24:25], -v[208:209]
	s_waitcnt lgkmcnt(0)
	; wave barrier
	v_fma_f64 v[198:199], v[172:173], s[2:3], v[198:199]
	v_fma_f64 v[200:201], v[174:175], s[2:3], v[200:201]
	;; [unrolled: 1-line block ×4, first 2 shown]
	ds_write_b128 v196, v[16:19]
	ds_write_b128 v196, v[24:27] offset:784
	ds_write_b128 v196, v[20:23] offset:1568
	;; [unrolled: 1-line block ×13, first 2 shown]
	v_lshlrev_b32_e32 v16, 4, v197
	buffer_store_dword v16, off, s[40:43], 0 offset:2828 ; 4-byte Folded Spill
	ds_write_b128 v16, v[44:47] offset:10976
	ds_write_b128 v16, v[60:63] offset:11760
	ds_write_b128 v16, v[52:55] offset:12544
	ds_write_b128 v16, v[76:79] offset:13328
	ds_write_b128 v16, v[84:87] offset:14112
	ds_write_b128 v16, v[88:91] offset:14896
	ds_write_b128 v16, v[96:99] offset:15680
	v_lshlrev_b32_e32 v16, 4, v228
	buffer_store_dword v16, off, s[40:43], 0 offset:2592 ; 4-byte Folded Spill
	ds_write_b128 v16, v[12:15] offset:16464
	ds_write_b128 v16, v[104:107] offset:17248
	ds_write_b128 v16, v[100:103] offset:18032
	ds_write_b128 v16, v[108:111] offset:18816
	ds_write_b128 v16, v[112:115] offset:19600
	ds_write_b128 v16, v[116:119] offset:20384
	ds_write_b128 v16, v[120:123] offset:21168
	;; [unrolled: 9-line block ×4, first 2 shown]
	v_lshlrev_b32_e32 v4, 4, v231
	buffer_store_dword v4, off, s[40:43], 0 offset:924 ; 4-byte Folded Spill
	s_waitcnt vmcnt(7)
	v_add_f64 v[0:1], v[0:1], v[184:185]
	s_waitcnt vmcnt(5)
	v_add_f64 v[2:3], v[2:3], v[186:187]
	v_fma_f64 v[184:185], v[184:185], s[18:19], v[0:1]
	v_fma_f64 v[186:187], v[186:187], s[18:19], v[2:3]
	v_add_f64 v[206:207], v[176:177], v[184:185]
	v_add_f64 v[208:209], v[178:179], v[186:187]
	;; [unrolled: 1-line block ×6, first 2 shown]
	v_fma_f64 v[186:187], v[172:173], s[2:3], v[180:181]
	v_fma_f64 v[184:185], v[174:175], s[2:3], v[182:183]
	v_add_f64 v[172:173], v[200:201], v[206:207]
	v_add_f64 v[174:175], v[208:209], -v[198:199]
	v_add_f64 v[176:177], v[188:189], v[192:193]
	v_add_f64 v[178:179], v[194:195], -v[210:211]
	v_add_f64 v[188:189], v[192:193], -v[188:189]
	v_add_f64 v[190:191], v[210:211], v[194:195]
	v_add_f64 v[182:183], v[186:187], v[204:205]
	v_add_f64 v[180:181], v[202:203], -v[184:185]
	v_add_f64 v[184:185], v[184:185], v[202:203]
	v_add_f64 v[186:187], v[204:205], -v[186:187]
	v_add_f64 v[192:193], v[206:207], -v[200:201]
	v_add_f64 v[194:195], v[198:199], v[208:209]
	ds_write_b128 v4, v[0:3] offset:32928
	ds_write_b128 v4, v[172:175] offset:33712
	;; [unrolled: 1-line block ×7, first 2 shown]
	v_add_co_u32_e32 v0, vcc, s10, v226
	v_addc_co_u32_e32 v1, vcc, 0, v227, vcc
	v_add_co_u32_e32 v2, vcc, s31, v226
	v_addc_co_u32_e32 v3, vcc, 0, v227, vcc
	s_waitcnt lgkmcnt(0)
	; wave barrier
	s_waitcnt lgkmcnt(0)
	ds_read_b128 v[8:11], v196
	ds_read_b128 v[192:195], v196 offset:5488
	ds_read_b128 v[188:191], v196 offset:10976
	;; [unrolled: 1-line block ×48, first 2 shown]
	global_load_dwordx4 v[16:19], v[2:3], off offset:1280
	global_load_dwordx4 v[4:7], v[0:1], off offset:48
	;; [unrolled: 1-line block ×4, first 2 shown]
	s_waitcnt vmcnt(3)
	buffer_store_dword v16, off, s[40:43], 0 offset:1028 ; 4-byte Folded Spill
	s_nop 0
	buffer_store_dword v17, off, s[40:43], 0 offset:1032 ; 4-byte Folded Spill
	buffer_store_dword v18, off, s[40:43], 0 offset:1036 ; 4-byte Folded Spill
	buffer_store_dword v19, off, s[40:43], 0 offset:1040 ; 4-byte Folded Spill
	s_waitcnt vmcnt(4)
	buffer_store_dword v28, off, s[40:43], 0 offset:1044 ; 4-byte Folded Spill
	s_nop 0
	buffer_store_dword v29, off, s[40:43], 0 offset:1048 ; 4-byte Folded Spill
	buffer_store_dword v30, off, s[40:43], 0 offset:1052 ; 4-byte Folded Spill
	buffer_store_dword v31, off, s[40:43], 0 offset:1056 ; 4-byte Folded Spill
	buffer_store_dword v12, off, s[40:43], 0 offset:1060 ; 4-byte Folded Spill
	s_nop 0
	buffer_store_dword v13, off, s[40:43], 0 offset:1064 ; 4-byte Folded Spill
	buffer_store_dword v14, off, s[40:43], 0 offset:1068 ; 4-byte Folded Spill
	buffer_store_dword v15, off, s[40:43], 0 offset:1072 ; 4-byte Folded Spill
	;; [unrolled: 5-line block ×3, first 2 shown]
	s_waitcnt lgkmcnt(14)
	v_mul_f64 v[0:1], v[194:195], v[18:19]
	v_fma_f64 v[208:209], v[192:193], v[16:17], -v[0:1]
	v_mul_f64 v[0:1], v[192:193], v[18:19]
	v_fma_f64 v[210:211], v[194:195], v[16:17], v[0:1]
	v_mul_f64 v[0:1], v[190:191], v[30:31]
	v_fma_f64 v[214:215], v[188:189], v[28:29], -v[0:1]
	v_mul_f64 v[0:1], v[188:189], v[30:31]
	v_fma_f64 v[18:19], v[190:191], v[28:29], v[0:1]
	;; [unrolled: 4-line block ×4, first 2 shown]
	global_load_dwordx4 v[2:5], v[2:3], off offset:1344
	v_add_co_u32_e32 v0, vcc, s11, v226
	v_addc_co_u32_e32 v1, vcc, 0, v227, vcc
	s_waitcnt vmcnt(0)
	buffer_store_dword v2, off, s[40:43], 0 offset:1172 ; 4-byte Folded Spill
	s_nop 0
	buffer_store_dword v3, off, s[40:43], 0 offset:1176 ; 4-byte Folded Spill
	buffer_store_dword v4, off, s[40:43], 0 offset:1180 ; 4-byte Folded Spill
	;; [unrolled: 1-line block ×3, first 2 shown]
	global_load_dwordx4 v[48:51], v[0:1], off offset:16
	s_waitcnt vmcnt(0)
	buffer_store_dword v48, off, s[40:43], 0 offset:1252 ; 4-byte Folded Spill
	s_nop 0
	buffer_store_dword v49, off, s[40:43], 0 offset:1256 ; 4-byte Folded Spill
	buffer_store_dword v50, off, s[40:43], 0 offset:1260 ; 4-byte Folded Spill
	;; [unrolled: 1-line block ×3, first 2 shown]
	v_mul_f64 v[0:1], v[178:179], v[4:5]
	v_fma_f64 v[12:13], v[176:177], v[2:3], -v[0:1]
	v_mul_f64 v[0:1], v[176:177], v[4:5]
	v_fma_f64 v[6:7], v[178:179], v[2:3], v[0:1]
	v_mul_f64 v[0:1], v[174:175], v[50:51]
	v_fma_f64 v[4:5], v[172:173], v[48:49], -v[0:1]
	v_mul_f64 v[0:1], v[172:173], v[50:51]
	v_fma_f64 v[2:3], v[174:175], v[48:49], v[0:1]
	buffer_load_dword v0, off, s[40:43], 0 offset:1428 ; 4-byte Folded Reload
	s_waitcnt vmcnt(0)
	v_mad_u64_u32 v[0:1], s[36:37], v0, s35, v[224:225]
	v_add_co_u32_e32 v30, vcc, s10, v0
	v_addc_co_u32_e32 v31, vcc, 0, v1, vcc
	v_add_co_u32_e32 v48, vcc, s31, v0
	v_addc_co_u32_e32 v49, vcc, 0, v1, vcc
	global_load_dwordx4 v[186:189], v[48:49], off offset:1280
	global_load_dwordx4 v[174:177], v[30:31], off offset:48
	;; [unrolled: 1-line block ×4, first 2 shown]
	s_waitcnt vmcnt(3)
	buffer_store_dword v186, off, s[40:43], 0 offset:1428 ; 4-byte Folded Spill
	s_nop 0
	buffer_store_dword v187, off, s[40:43], 0 offset:1432 ; 4-byte Folded Spill
	buffer_store_dword v188, off, s[40:43], 0 offset:1436 ; 4-byte Folded Spill
	;; [unrolled: 1-line block ×3, first 2 shown]
	s_waitcnt vmcnt(4)
	buffer_store_dword v182, off, s[40:43], 0 offset:1444 ; 4-byte Folded Spill
	s_nop 0
	buffer_store_dword v183, off, s[40:43], 0 offset:1448 ; 4-byte Folded Spill
	buffer_store_dword v184, off, s[40:43], 0 offset:1452 ; 4-byte Folded Spill
	buffer_store_dword v185, off, s[40:43], 0 offset:1456 ; 4-byte Folded Spill
	buffer_store_dword v178, off, s[40:43], 0 offset:1460 ; 4-byte Folded Spill
	s_nop 0
	buffer_store_dword v179, off, s[40:43], 0 offset:1464 ; 4-byte Folded Spill
	buffer_store_dword v180, off, s[40:43], 0 offset:1468 ; 4-byte Folded Spill
	buffer_store_dword v181, off, s[40:43], 0 offset:1472 ; 4-byte Folded Spill
	;; [unrolled: 5-line block ×3, first 2 shown]
	global_load_dwordx4 v[48:51], v[48:49], off offset:1344
	s_waitcnt vmcnt(0)
	buffer_store_dword v48, off, s[40:43], 0 offset:1560 ; 4-byte Folded Spill
	s_nop 0
	buffer_store_dword v49, off, s[40:43], 0 offset:1564 ; 4-byte Folded Spill
	buffer_store_dword v50, off, s[40:43], 0 offset:1568 ; 4-byte Folded Spill
	;; [unrolled: 1-line block ×3, first 2 shown]
	v_mul_f64 v[30:31], v[170:171], v[188:189]
	s_movk_i32 s10, 0x2760
	v_fma_f64 v[172:173], v[168:169], v[186:187], -v[30:31]
	v_mul_f64 v[30:31], v[168:169], v[188:189]
	v_fma_f64 v[168:169], v[170:171], v[186:187], v[30:31]
	v_mul_f64 v[30:31], v[166:167], v[184:185]
	v_fma_f64 v[250:251], v[164:165], v[182:183], -v[30:31]
	v_mul_f64 v[30:31], v[164:165], v[184:185]
	v_fma_f64 v[164:165], v[166:167], v[182:183], v[30:31]
	v_mul_f64 v[30:31], v[162:163], v[180:181]
	;; [unrolled: 4-line block ×3, first 2 shown]
	v_fma_f64 v[160:161], v[156:157], v[174:175], -v[30:31]
	v_mul_f64 v[30:31], v[156:157], v[176:177]
	v_fma_f64 v[158:159], v[158:159], v[174:175], v[30:31]
	v_add_co_u32_e32 v30, vcc, s11, v0
	v_addc_co_u32_e32 v31, vcc, 0, v1, vcc
	global_load_dwordx4 v[174:177], v[30:31], off offset:16
	s_waitcnt vmcnt(0)
	buffer_store_dword v174, off, s[40:43], 0 offset:1592 ; 4-byte Folded Spill
	s_nop 0
	buffer_store_dword v175, off, s[40:43], 0 offset:1596 ; 4-byte Folded Spill
	buffer_store_dword v176, off, s[40:43], 0 offset:1600 ; 4-byte Folded Spill
	;; [unrolled: 1-line block ×3, first 2 shown]
	v_mul_f64 v[30:31], v[154:155], v[50:51]
	v_fma_f64 v[156:157], v[152:153], v[48:49], -v[30:31]
	v_mul_f64 v[30:31], v[152:153], v[50:51]
	v_fma_f64 v[50:51], v[154:155], v[48:49], v[30:31]
	v_mul_f64 v[30:31], v[150:151], v[176:177]
	v_fma_f64 v[48:49], v[148:149], v[174:175], -v[30:31]
	v_mul_f64 v[30:31], v[148:149], v[176:177]
	v_add_co_u32_e32 v148, vcc, s10, v0
	v_addc_co_u32_e32 v149, vcc, 0, v1, vcc
	s_movk_i32 s10, 0x27a0
	v_fma_f64 v[30:31], v[150:151], v[174:175], v[30:31]
	v_add_co_u32_e32 v150, vcc, s30, v0
	v_addc_co_u32_e32 v151, vcc, 0, v1, vcc
	global_load_dwordx4 v[182:185], v[150:151], off offset:1888
	global_load_dwordx4 v[152:155], v[148:149], off offset:48
	;; [unrolled: 1-line block ×4, first 2 shown]
	s_waitcnt vmcnt(3)
	buffer_store_dword v182, off, s[40:43], 0 offset:1740 ; 4-byte Folded Spill
	s_nop 0
	buffer_store_dword v183, off, s[40:43], 0 offset:1744 ; 4-byte Folded Spill
	buffer_store_dword v184, off, s[40:43], 0 offset:1748 ; 4-byte Folded Spill
	;; [unrolled: 1-line block ×3, first 2 shown]
	s_waitcnt vmcnt(4)
	buffer_store_dword v178, off, s[40:43], 0 offset:1756 ; 4-byte Folded Spill
	s_nop 0
	buffer_store_dword v179, off, s[40:43], 0 offset:1760 ; 4-byte Folded Spill
	buffer_store_dword v180, off, s[40:43], 0 offset:1764 ; 4-byte Folded Spill
	buffer_store_dword v181, off, s[40:43], 0 offset:1768 ; 4-byte Folded Spill
	buffer_store_dword v174, off, s[40:43], 0 offset:1772 ; 4-byte Folded Spill
	s_nop 0
	buffer_store_dword v175, off, s[40:43], 0 offset:1776 ; 4-byte Folded Spill
	buffer_store_dword v176, off, s[40:43], 0 offset:1780 ; 4-byte Folded Spill
	buffer_store_dword v177, off, s[40:43], 0 offset:1784 ; 4-byte Folded Spill
	;; [unrolled: 5-line block ×3, first 2 shown]
	v_mul_f64 v[148:149], v[146:147], v[184:185]
	v_fma_f64 v[148:149], v[144:145], v[182:183], -v[148:149]
	v_mul_f64 v[144:145], v[144:145], v[184:185]
	v_fma_f64 v[226:227], v[146:147], v[182:183], v[144:145]
	v_mul_f64 v[144:145], v[142:143], v[180:181]
	v_fma_f64 v[144:145], v[140:141], v[178:179], -v[144:145]
	v_mul_f64 v[140:141], v[140:141], v[180:181]
	v_fma_f64 v[140:141], v[142:143], v[178:179], v[140:141]
	v_mul_f64 v[142:143], v[138:139], v[176:177]
	v_fma_f64 v[142:143], v[136:137], v[174:175], -v[142:143]
	v_mul_f64 v[136:137], v[136:137], v[176:177]
	v_fma_f64 v[138:139], v[138:139], v[174:175], v[136:137]
	v_mul_f64 v[136:137], v[134:135], v[154:155]
	v_fma_f64 v[136:137], v[132:133], v[152:153], -v[136:137]
	v_mul_f64 v[132:133], v[132:133], v[154:155]
	v_fma_f64 v[132:133], v[134:135], v[152:153], v[132:133]
	v_add_co_u32_e32 v134, vcc, s10, v0
	v_addc_co_u32_e32 v135, vcc, 0, v1, vcc
	global_load_dwordx4 v[174:177], v[150:151], off offset:1952
	s_nop 0
	global_load_dwordx4 v[150:153], v[134:135], off offset:16
	s_movk_i32 s10, 0x39c0
	s_waitcnt vmcnt(1)
	v_mul_f64 v[134:135], v[130:131], v[176:177]
	v_fma_f64 v[238:239], v[128:129], v[174:175], -v[134:135]
	buffer_store_dword v174, off, s[40:43], 0 offset:1900 ; 4-byte Folded Spill
	s_nop 0
	buffer_store_dword v175, off, s[40:43], 0 offset:1904 ; 4-byte Folded Spill
	buffer_store_dword v176, off, s[40:43], 0 offset:1908 ; 4-byte Folded Spill
	;; [unrolled: 1-line block ×3, first 2 shown]
	s_waitcnt vmcnt(4)
	buffer_store_dword v150, off, s[40:43], 0 offset:1948 ; 4-byte Folded Spill
	s_nop 0
	buffer_store_dword v151, off, s[40:43], 0 offset:1952 ; 4-byte Folded Spill
	buffer_store_dword v152, off, s[40:43], 0 offset:1956 ; 4-byte Folded Spill
	;; [unrolled: 1-line block ×3, first 2 shown]
	v_mul_f64 v[128:129], v[128:129], v[176:177]
	v_fma_f64 v[128:129], v[130:131], v[174:175], v[128:129]
	v_mul_f64 v[130:131], v[126:127], v[152:153]
	v_fma_f64 v[242:243], v[124:125], v[150:151], -v[130:131]
	v_mul_f64 v[124:125], v[124:125], v[152:153]
	v_fma_f64 v[124:125], v[126:127], v[150:151], v[124:125]
	v_add_co_u32_e32 v126, vcc, s10, v0
	v_addc_co_u32_e32 v127, vcc, 0, v1, vcc
	v_add_co_u32_e32 v130, vcc, s34, v0
	v_addc_co_u32_e32 v131, vcc, 0, v1, vcc
	global_load_dwordx4 v[182:185], v[130:131], off offset:2496
	global_load_dwordx4 v[150:153], v[126:127], off offset:48
	;; [unrolled: 1-line block ×4, first 2 shown]
	s_waitcnt vmcnt(3)
	buffer_store_dword v182, off, s[40:43], 0 offset:2032 ; 4-byte Folded Spill
	s_nop 0
	buffer_store_dword v183, off, s[40:43], 0 offset:2036 ; 4-byte Folded Spill
	buffer_store_dword v184, off, s[40:43], 0 offset:2040 ; 4-byte Folded Spill
	;; [unrolled: 1-line block ×3, first 2 shown]
	s_waitcnt vmcnt(4)
	buffer_store_dword v178, off, s[40:43], 0 offset:2064 ; 4-byte Folded Spill
	s_nop 0
	buffer_store_dword v179, off, s[40:43], 0 offset:2068 ; 4-byte Folded Spill
	buffer_store_dword v180, off, s[40:43], 0 offset:2072 ; 4-byte Folded Spill
	buffer_store_dword v181, off, s[40:43], 0 offset:2076 ; 4-byte Folded Spill
	buffer_store_dword v174, off, s[40:43], 0 offset:2096 ; 4-byte Folded Spill
	s_nop 0
	buffer_store_dword v175, off, s[40:43], 0 offset:2100 ; 4-byte Folded Spill
	buffer_store_dword v176, off, s[40:43], 0 offset:2104 ; 4-byte Folded Spill
	buffer_store_dword v177, off, s[40:43], 0 offset:2108 ; 4-byte Folded Spill
	;; [unrolled: 5-line block ×3, first 2 shown]
	s_movk_i32 s10, 0x3a00
	v_mul_f64 v[126:127], v[122:123], v[184:185]
	v_fma_f64 v[126:127], v[120:121], v[182:183], -v[126:127]
	v_mul_f64 v[120:121], v[120:121], v[184:185]
	v_fma_f64 v[120:121], v[122:123], v[182:183], v[120:121]
	v_mul_f64 v[122:123], v[118:119], v[180:181]
	v_fma_f64 v[122:123], v[116:117], v[178:179], -v[122:123]
	v_mul_f64 v[116:117], v[116:117], v[180:181]
	v_fma_f64 v[118:119], v[118:119], v[178:179], v[116:117]
	;; [unrolled: 4-line block ×4, first 2 shown]
	v_add_co_u32_e32 v110, vcc, s10, v0
	v_addc_co_u32_e32 v111, vcc, 0, v1, vcc
	global_load_dwordx4 v[174:177], v[130:131], off offset:2560
	global_load_dwordx4 v[150:153], v[110:111], off offset:16
	s_movk_i32 s10, 0x4c20
	s_waitcnt vmcnt(1)
	v_mul_f64 v[110:111], v[106:107], v[176:177]
	v_fma_f64 v[110:111], v[104:105], v[174:175], -v[110:111]
	buffer_store_dword v174, off, s[40:43], 0 offset:2264 ; 4-byte Folded Spill
	s_nop 0
	buffer_store_dword v175, off, s[40:43], 0 offset:2268 ; 4-byte Folded Spill
	buffer_store_dword v176, off, s[40:43], 0 offset:2272 ; 4-byte Folded Spill
	;; [unrolled: 1-line block ×3, first 2 shown]
	s_waitcnt vmcnt(4)
	buffer_store_dword v150, off, s[40:43], 0 offset:2280 ; 4-byte Folded Spill
	s_nop 0
	buffer_store_dword v151, off, s[40:43], 0 offset:2284 ; 4-byte Folded Spill
	buffer_store_dword v152, off, s[40:43], 0 offset:2288 ; 4-byte Folded Spill
	;; [unrolled: 1-line block ×3, first 2 shown]
	v_mul_f64 v[104:105], v[104:105], v[176:177]
	v_fma_f64 v[104:105], v[106:107], v[174:175], v[104:105]
	v_mul_f64 v[106:107], v[102:103], v[152:153]
	v_fma_f64 v[106:107], v[100:101], v[150:151], -v[106:107]
	v_mul_f64 v[100:101], v[100:101], v[152:153]
	v_fma_f64 v[100:101], v[102:103], v[150:151], v[100:101]
	v_add_co_u32_e32 v102, vcc, s10, v0
	v_addc_co_u32_e32 v103, vcc, 0, v1, vcc
	v_add_co_u32_e32 v130, vcc, s29, v0
	v_addc_co_u32_e32 v131, vcc, 0, v1, vcc
	global_load_dwordx4 v[186:189], v[130:131], off offset:3104
	global_load_dwordx4 v[150:153], v[102:103], off offset:48
	;; [unrolled: 1-line block ×4, first 2 shown]
	s_waitcnt vmcnt(3)
	buffer_store_dword v186, off, s[40:43], 0 offset:2392 ; 4-byte Folded Spill
	s_nop 0
	buffer_store_dword v187, off, s[40:43], 0 offset:2396 ; 4-byte Folded Spill
	buffer_store_dword v188, off, s[40:43], 0 offset:2400 ; 4-byte Folded Spill
	buffer_store_dword v189, off, s[40:43], 0 offset:2404 ; 4-byte Folded Spill
	s_movk_i32 s10, 0x4c60
	v_mul_f64 v[102:103], v[98:99], v[188:189]
	v_fma_f64 v[180:181], v[96:97], v[186:187], -v[102:103]
	v_mul_f64 v[96:97], v[96:97], v[188:189]
	v_add_f64 v[102:103], v[114:115], v[108:109]
	v_fma_f64 v[174:175], v[98:99], v[186:187], v[96:97]
	s_waitcnt vmcnt(4)
	v_mov_b32_e32 v189, v179
	v_mov_b32_e32 v188, v178
	;; [unrolled: 1-line block ×4, first 2 shown]
	buffer_store_dword v186, off, s[40:43], 0 offset:2408 ; 4-byte Folded Spill
	s_nop 0
	buffer_store_dword v187, off, s[40:43], 0 offset:2412 ; 4-byte Folded Spill
	buffer_store_dword v188, off, s[40:43], 0 offset:2416 ; 4-byte Folded Spill
	;; [unrolled: 1-line block ×3, first 2 shown]
	v_mul_f64 v[96:97], v[94:95], v[188:189]
	v_fma_f64 v[176:177], v[92:93], v[186:187], -v[96:97]
	v_mul_f64 v[92:93], v[92:93], v[188:189]
	v_fma_f64 v[170:171], v[94:95], v[186:187], v[92:93]
	v_mov_b32_e32 v94, v182
	v_mov_b32_e32 v95, v183
	;; [unrolled: 1-line block ×4, first 2 shown]
	buffer_store_dword v94, off, s[40:43], 0 offset:2424 ; 4-byte Folded Spill
	s_nop 0
	buffer_store_dword v95, off, s[40:43], 0 offset:2428 ; 4-byte Folded Spill
	buffer_store_dword v96, off, s[40:43], 0 offset:2432 ; 4-byte Folded Spill
	;; [unrolled: 1-line block ×4, first 2 shown]
	s_nop 0
	buffer_store_dword v151, off, s[40:43], 0 offset:2444 ; 4-byte Folded Spill
	buffer_store_dword v152, off, s[40:43], 0 offset:2448 ; 4-byte Folded Spill
	;; [unrolled: 1-line block ×3, first 2 shown]
	v_mul_f64 v[92:93], v[90:91], v[96:97]
	v_fma_f64 v[182:183], v[88:89], v[94:95], -v[92:93]
	v_mul_f64 v[88:89], v[88:89], v[96:97]
	v_fma_f64 v[178:179], v[90:91], v[94:95], v[88:89]
	v_mul_f64 v[88:89], v[86:87], v[152:153]
	v_fma_f64 v[154:155], v[84:85], v[150:151], -v[88:89]
	v_mul_f64 v[84:85], v[84:85], v[152:153]
	v_fma_f64 v[152:153], v[86:87], v[150:151], v[84:85]
	v_add_co_u32_e32 v84, vcc, s10, v0
	v_addc_co_u32_e32 v85, vcc, 0, v1, vcc
	global_load_dwordx4 v[90:93], v[130:131], off offset:3168
	global_load_dwordx4 v[86:89], v[84:85], off offset:16
	s_movk_i32 s10, 0x5e80
	s_waitcnt vmcnt(1)
	v_mul_f64 v[84:85], v[82:83], v[92:93]
	v_fma_f64 v[150:151], v[80:81], v[90:91], -v[84:85]
	buffer_store_dword v90, off, s[40:43], 0 offset:2488 ; 4-byte Folded Spill
	s_nop 0
	buffer_store_dword v91, off, s[40:43], 0 offset:2492 ; 4-byte Folded Spill
	buffer_store_dword v92, off, s[40:43], 0 offset:2496 ; 4-byte Folded Spill
	;; [unrolled: 1-line block ×3, first 2 shown]
	s_waitcnt vmcnt(4)
	buffer_store_dword v86, off, s[40:43], 0 offset:2504 ; 4-byte Folded Spill
	s_nop 0
	buffer_store_dword v87, off, s[40:43], 0 offset:2508 ; 4-byte Folded Spill
	buffer_store_dword v88, off, s[40:43], 0 offset:2512 ; 4-byte Folded Spill
	;; [unrolled: 1-line block ×3, first 2 shown]
	v_mul_f64 v[80:81], v[80:81], v[92:93]
	v_fma_f64 v[134:135], v[82:83], v[90:91], v[80:81]
	v_mul_f64 v[80:81], v[78:79], v[88:89]
	v_fma_f64 v[130:131], v[76:77], v[86:87], -v[80:81]
	v_mul_f64 v[76:77], v[76:77], v[88:89]
	v_fma_f64 v[146:147], v[78:79], v[86:87], v[76:77]
	v_add_co_u32_e32 v76, vcc, s10, v0
	v_addc_co_u32_e32 v77, vcc, 0, v1, vcc
	v_add_co_u32_e32 v78, vcc, s28, v0
	v_addc_co_u32_e32 v79, vcc, 0, v1, vcc
	global_load_dwordx4 v[92:95], v[78:79], off offset:3712
	global_load_dwordx4 v[80:83], v[76:77], off offset:48
	;; [unrolled: 1-line block ×4, first 2 shown]
	s_waitcnt vmcnt(3)
	buffer_store_dword v92, off, s[40:43], 0 offset:2596 ; 4-byte Folded Spill
	s_nop 0
	buffer_store_dword v93, off, s[40:43], 0 offset:2600 ; 4-byte Folded Spill
	buffer_store_dword v94, off, s[40:43], 0 offset:2604 ; 4-byte Folded Spill
	;; [unrolled: 1-line block ×3, first 2 shown]
	s_movk_i32 s10, 0x5ec0
	s_waitcnt lgkmcnt(12)
	v_mul_f64 v[76:77], v[74:75], v[94:95]
	v_fma_f64 v[76:77], v[72:73], v[92:93], -v[76:77]
	buffer_store_dword v76, off, s[40:43], 0 offset:2924 ; 4-byte Folded Spill
	s_nop 0
	buffer_store_dword v77, off, s[40:43], 0 offset:2928 ; 4-byte Folded Spill
	s_waitcnt vmcnt(6)
	buffer_store_dword v88, off, s[40:43], 0 offset:2628 ; 4-byte Folded Spill
	s_nop 0
	buffer_store_dword v89, off, s[40:43], 0 offset:2632 ; 4-byte Folded Spill
	buffer_store_dword v90, off, s[40:43], 0 offset:2636 ; 4-byte Folded Spill
	;; [unrolled: 1-line block ×4, first 2 shown]
	s_nop 0
	buffer_store_dword v85, off, s[40:43], 0 offset:2648 ; 4-byte Folded Spill
	buffer_store_dword v86, off, s[40:43], 0 offset:2652 ; 4-byte Folded Spill
	;; [unrolled: 1-line block ×3, first 2 shown]
	v_mul_f64 v[72:73], v[72:73], v[94:95]
	v_fma_f64 v[240:241], v[74:75], v[92:93], v[72:73]
	s_waitcnt lgkmcnt(11)
	v_mul_f64 v[72:73], v[70:71], v[90:91]
	v_fma_f64 v[236:237], v[68:69], v[88:89], -v[72:73]
	v_mul_f64 v[68:69], v[68:69], v[90:91]
	v_fma_f64 v[224:225], v[70:71], v[88:89], v[68:69]
	s_waitcnt lgkmcnt(10)
	v_mul_f64 v[68:69], v[66:67], v[86:87]
	v_fma_f64 v[68:69], v[64:65], v[84:85], -v[68:69]
	buffer_store_dword v68, off, s[40:43], 0 offset:2916 ; 4-byte Folded Spill
	s_nop 0
	buffer_store_dword v69, off, s[40:43], 0 offset:2920 ; 4-byte Folded Spill
	buffer_store_dword v80, off, s[40:43], 0 offset:2676 ; 4-byte Folded Spill
	s_nop 0
	buffer_store_dword v81, off, s[40:43], 0 offset:2680 ; 4-byte Folded Spill
	buffer_store_dword v82, off, s[40:43], 0 offset:2684 ; 4-byte Folded Spill
	;; [unrolled: 1-line block ×3, first 2 shown]
	v_mul_f64 v[64:65], v[64:65], v[86:87]
	v_fma_f64 v[244:245], v[66:67], v[84:85], v[64:65]
	s_waitcnt lgkmcnt(9)
	v_mul_f64 v[64:65], v[62:63], v[82:83]
	v_fma_f64 v[194:195], v[60:61], v[80:81], -v[64:65]
	v_mul_f64 v[60:61], v[60:61], v[82:83]
	v_fma_f64 v[192:193], v[62:63], v[80:81], v[60:61]
	v_add_co_u32_e32 v60, vcc, s10, v0
	v_addc_co_u32_e32 v61, vcc, 0, v1, vcc
	global_load_dwordx4 v[66:69], v[78:79], off offset:3776
	global_load_dwordx4 v[62:65], v[60:61], off offset:16
	s_movk_i32 s10, 0x70e0
	s_waitcnt vmcnt(1) lgkmcnt(8)
	v_mul_f64 v[60:61], v[58:59], v[68:69]
	v_fma_f64 v[190:191], v[56:57], v[66:67], -v[60:61]
	buffer_store_dword v66, off, s[40:43], 0 offset:2692 ; 4-byte Folded Spill
	s_nop 0
	buffer_store_dword v67, off, s[40:43], 0 offset:2696 ; 4-byte Folded Spill
	buffer_store_dword v68, off, s[40:43], 0 offset:2700 ; 4-byte Folded Spill
	;; [unrolled: 1-line block ×3, first 2 shown]
	s_waitcnt vmcnt(4)
	buffer_store_dword v62, off, s[40:43], 0 offset:2708 ; 4-byte Folded Spill
	s_nop 0
	buffer_store_dword v63, off, s[40:43], 0 offset:2712 ; 4-byte Folded Spill
	buffer_store_dword v64, off, s[40:43], 0 offset:2716 ; 4-byte Folded Spill
	buffer_store_dword v65, off, s[40:43], 0 offset:2720 ; 4-byte Folded Spill
	v_mul_f64 v[56:57], v[56:57], v[68:69]
	v_fma_f64 v[188:189], v[58:59], v[66:67], v[56:57]
	s_waitcnt lgkmcnt(7)
	v_mul_f64 v[56:57], v[54:55], v[64:65]
	v_fma_f64 v[186:187], v[52:53], v[62:63], -v[56:57]
	v_mul_f64 v[52:53], v[52:53], v[64:65]
	v_fma_f64 v[184:185], v[54:55], v[62:63], v[52:53]
	v_add_co_u32_e32 v52, vcc, s10, v0
	v_addc_co_u32_e32 v53, vcc, 0, v1, vcc
	v_add_co_u32_e32 v54, vcc, s33, v0
	v_addc_co_u32_e32 v55, vcc, 0, v1, vcc
	global_load_dwordx4 v[68:71], v[54:55], off offset:224
	global_load_dwordx4 v[56:59], v[52:53], off offset:48
	;; [unrolled: 1-line block ×4, first 2 shown]
	s_waitcnt vmcnt(3)
	buffer_store_dword v68, off, s[40:43], 0 offset:2724 ; 4-byte Folded Spill
	s_nop 0
	buffer_store_dword v69, off, s[40:43], 0 offset:2728 ; 4-byte Folded Spill
	buffer_store_dword v70, off, s[40:43], 0 offset:2732 ; 4-byte Folded Spill
	;; [unrolled: 1-line block ×3, first 2 shown]
	s_waitcnt vmcnt(4)
	buffer_store_dword v64, off, s[40:43], 0 offset:2740 ; 4-byte Folded Spill
	s_nop 0
	buffer_store_dword v65, off, s[40:43], 0 offset:2744 ; 4-byte Folded Spill
	buffer_store_dword v66, off, s[40:43], 0 offset:2748 ; 4-byte Folded Spill
	;; [unrolled: 1-line block ×3, first 2 shown]
	s_movk_i32 s10, 0x7120
	v_add_co_u32_e32 v0, vcc, s10, v0
	v_addc_co_u32_e32 v1, vcc, 0, v1, vcc
	s_waitcnt lgkmcnt(5)
	v_mul_f64 v[52:53], v[46:47], v[70:71]
	v_fma_f64 v[230:231], v[44:45], v[68:69], -v[52:53]
	v_mul_f64 v[44:45], v[44:45], v[70:71]
	v_fma_f64 v[234:235], v[46:47], v[68:69], v[44:45]
	s_waitcnt lgkmcnt(4)
	v_mul_f64 v[44:45], v[42:43], v[66:67]
	v_fma_f64 v[232:233], v[40:41], v[64:65], -v[44:45]
	v_mul_f64 v[40:41], v[40:41], v[66:67]
	v_fma_f64 v[40:41], v[42:43], v[64:65], v[40:41]
	buffer_store_dword v40, off, s[40:43], 0 offset:2860 ; 4-byte Folded Spill
	s_nop 0
	buffer_store_dword v41, off, s[40:43], 0 offset:2864 ; 4-byte Folded Spill
	buffer_store_dword v60, off, s[40:43], 0 offset:2756 ; 4-byte Folded Spill
	s_nop 0
	buffer_store_dword v61, off, s[40:43], 0 offset:2760 ; 4-byte Folded Spill
	buffer_store_dword v62, off, s[40:43], 0 offset:2764 ; 4-byte Folded Spill
	;; [unrolled: 1-line block ×4, first 2 shown]
	s_nop 0
	buffer_store_dword v57, off, s[40:43], 0 offset:2776 ; 4-byte Folded Spill
	buffer_store_dword v58, off, s[40:43], 0 offset:2780 ; 4-byte Folded Spill
	;; [unrolled: 1-line block ×3, first 2 shown]
	s_waitcnt lgkmcnt(3)
	v_mul_f64 v[40:41], v[38:39], v[62:63]
	v_fma_f64 v[197:198], v[36:37], v[60:61], -v[40:41]
	v_mul_f64 v[36:37], v[36:37], v[62:63]
	v_fma_f64 v[228:229], v[38:39], v[60:61], v[36:37]
	s_waitcnt lgkmcnt(2)
	v_mul_f64 v[36:37], v[34:35], v[58:59]
	v_fma_f64 v[36:37], v[32:33], v[56:57], -v[36:37]
	v_mul_f64 v[32:33], v[32:33], v[58:59]
	buffer_store_dword v36, off, s[40:43], 0 offset:2868 ; 4-byte Folded Spill
	s_nop 0
	buffer_store_dword v37, off, s[40:43], 0 offset:2872 ; 4-byte Folded Spill
	v_fma_f64 v[32:33], v[34:35], v[56:57], v[32:33]
	buffer_store_dword v32, off, s[40:43], 0 offset:2876 ; 4-byte Folded Spill
	s_nop 0
	buffer_store_dword v33, off, s[40:43], 0 offset:2880 ; 4-byte Folded Spill
	global_load_dwordx4 v[36:39], v[54:55], off offset:288
	s_waitcnt vmcnt(0)
	buffer_store_dword v36, off, s[40:43], 0 offset:2796 ; 4-byte Folded Spill
	s_nop 0
	buffer_store_dword v37, off, s[40:43], 0 offset:2800 ; 4-byte Folded Spill
	buffer_store_dword v38, off, s[40:43], 0 offset:2804 ; 4-byte Folded Spill
	;; [unrolled: 1-line block ×3, first 2 shown]
	global_load_dwordx4 v[32:35], v[0:1], off offset:16
	s_waitcnt vmcnt(0)
	buffer_store_dword v32, off, s[40:43], 0 offset:2812 ; 4-byte Folded Spill
	s_nop 0
	buffer_store_dword v33, off, s[40:43], 0 offset:2816 ; 4-byte Folded Spill
	buffer_store_dword v34, off, s[40:43], 0 offset:2820 ; 4-byte Folded Spill
	;; [unrolled: 1-line block ×3, first 2 shown]
	s_waitcnt lgkmcnt(1)
	v_mul_f64 v[0:1], v[26:27], v[38:39]
	v_fma_f64 v[0:1], v[24:25], v[36:37], -v[0:1]
	buffer_store_dword v0, off, s[40:43], 0 offset:2884 ; 4-byte Folded Spill
	s_nop 0
	buffer_store_dword v1, off, s[40:43], 0 offset:2888 ; 4-byte Folded Spill
	v_mul_f64 v[0:1], v[24:25], v[38:39]
	v_add_f64 v[24:25], v[18:19], v[6:7]
	v_add_f64 v[6:7], v[18:19], -v[6:7]
	v_add_f64 v[18:19], v[212:213], v[16:17]
	v_add_f64 v[16:17], v[16:17], -v[212:213]
	v_fma_f64 v[0:1], v[26:27], v[36:37], v[0:1]
	buffer_store_dword v0, off, s[40:43], 0 offset:2892 ; 4-byte Folded Spill
	s_nop 0
	buffer_store_dword v1, off, s[40:43], 0 offset:2896 ; 4-byte Folded Spill
	v_add_f64 v[26:27], v[28:29], v[14:15]
	v_add_f64 v[14:15], v[14:15], -v[28:29]
	v_add_f64 v[40:41], v[14:15], v[6:7]
	v_add_f64 v[44:45], v[14:15], -v[6:7]
	s_waitcnt lgkmcnt(0)
	v_mul_f64 v[0:1], v[22:23], v[34:35]
	v_fma_f64 v[0:1], v[20:21], v[32:33], -v[0:1]
	buffer_store_dword v0, off, s[40:43], 0 offset:2900 ; 4-byte Folded Spill
	s_nop 0
	buffer_store_dword v1, off, s[40:43], 0 offset:2904 ; 4-byte Folded Spill
	v_mul_f64 v[0:1], v[20:21], v[34:35]
	v_add_f64 v[20:21], v[210:211], v[2:3]
	v_add_f64 v[2:3], v[210:211], -v[2:3]
	v_fma_f64 v[0:1], v[22:23], v[32:33], v[0:1]
	buffer_store_dword v0, off, s[40:43], 0 offset:2908 ; 4-byte Folded Spill
	s_nop 0
	buffer_store_dword v1, off, s[40:43], 0 offset:2912 ; 4-byte Folded Spill
	v_add_f64 v[0:1], v[208:209], v[4:5]
	v_add_f64 v[22:23], v[214:215], v[12:13]
	v_add_f64 v[12:13], v[214:215], -v[12:13]
	v_add_f64 v[32:33], v[24:25], v[20:21]
	v_add_f64 v[4:5], v[208:209], -v[4:5]
	v_add_f64 v[36:37], v[24:25], -v[20:21]
	;; [unrolled: 1-line block ×5, first 2 shown]
	v_add_f64 v[28:29], v[22:23], v[0:1]
	v_add_f64 v[34:35], v[22:23], -v[0:1]
	v_add_f64 v[0:1], v[0:1], -v[18:19]
	;; [unrolled: 1-line block ×3, first 2 shown]
	v_add_f64 v[38:39], v[16:17], v[12:13]
	v_add_f64 v[42:43], v[16:17], -v[12:13]
	v_add_f64 v[26:27], v[26:27], v[32:33]
	v_add_f64 v[16:17], v[4:5], -v[16:17]
	;; [unrolled: 2-line block ×3, first 2 shown]
	v_add_f64 v[12:13], v[12:13], -v[4:5]
	v_add_f64 v[2:3], v[40:41], v[2:3]
	v_add_f64 v[4:5], v[38:39], v[4:5]
	v_mul_f64 v[0:1], v[0:1], s[26:27]
	v_add_f64 v[10:11], v[10:11], v[26:27]
	v_mul_f64 v[20:21], v[20:21], s[26:27]
	;; [unrolled: 2-line block ×3, first 2 shown]
	v_mul_f64 v[32:33], v[24:25], s[6:7]
	v_mul_f64 v[38:39], v[42:43], s[20:21]
	;; [unrolled: 1-line block ×5, first 2 shown]
	v_fma_f64 v[26:27], v[26:27], s[18:19], v[10:11]
	v_fma_f64 v[18:19], v[18:19], s[18:19], v[8:9]
	;; [unrolled: 1-line block ×4, first 2 shown]
	v_fma_f64 v[28:29], v[34:35], s[14:15], -v[28:29]
	v_fma_f64 v[32:33], v[36:37], s[14:15], -v[32:33]
	;; [unrolled: 1-line block ×4, first 2 shown]
	v_fma_f64 v[36:37], v[14:15], s[8:9], v[40:41]
	v_fma_f64 v[12:13], v[12:13], s[24:25], -v[38:39]
	v_fma_f64 v[6:7], v[6:7], s[24:25], -v[40:41]
	v_fma_f64 v[14:15], v[14:15], s[22:23], v[44:45]
	v_fma_f64 v[34:35], v[16:17], s[8:9], v[38:39]
	;; [unrolled: 1-line block ×3, first 2 shown]
	v_add_f64 v[22:23], v[22:23], v[18:19]
	v_add_f64 v[52:53], v[24:25], v[26:27]
	;; [unrolled: 1-line block ×6, first 2 shown]
	v_fma_f64 v[20:21], v[2:3], s[2:3], v[36:37]
	v_fma_f64 v[12:13], v[4:5], s[2:3], v[12:13]
	v_fma_f64 v[6:7], v[2:3], s[2:3], v[6:7]
	v_fma_f64 v[2:3], v[2:3], s[2:3], v[14:15]
	v_fma_f64 v[54:55], v[4:5], s[2:3], v[34:35]
	v_fma_f64 v[4:5], v[4:5], s[2:3], v[16:17]
	v_add_f64 v[14:15], v[164:165], v[50:51]
	v_add_f64 v[16:17], v[250:251], -v[156:157]
	v_add_f64 v[40:41], v[20:21], v[22:23]
	v_add_f64 v[38:39], v[12:13], v[28:29]
	v_add_f64 v[36:37], v[24:25], -v[6:7]
	v_add_f64 v[44:45], v[2:3], v[0:1]
	v_add_f64 v[32:33], v[6:7], v[24:25]
	v_add_f64 v[34:35], v[28:29], -v[12:13]
	v_add_f64 v[24:25], v[0:1], -v[2:3]
	v_add_f64 v[0:1], v[172:173], v[48:49]
	v_add_f64 v[2:3], v[168:169], v[30:31]
	;; [unrolled: 1-line block ×3, first 2 shown]
	v_add_f64 v[42:43], v[52:53], -v[54:55]
	v_add_f64 v[46:47], v[18:19], -v[4:5]
	v_add_f64 v[26:27], v[4:5], v[18:19]
	v_add_f64 v[20:21], v[22:23], -v[20:21]
	v_add_f64 v[22:23], v[54:55], v[52:53]
	v_add_f64 v[4:5], v[172:173], -v[48:49]
	v_add_f64 v[6:7], v[168:169], -v[30:31]
	;; [unrolled: 1-line block ×3, first 2 shown]
	v_add_f64 v[28:29], v[166:167], v[160:161]
	v_add_f64 v[30:31], v[162:163], v[158:159]
	v_add_f64 v[48:49], v[160:161], -v[166:167]
	v_add_f64 v[50:51], v[158:159], -v[162:163]
	v_add_f64 v[52:53], v[12:13], v[0:1]
	v_add_f64 v[54:55], v[14:15], v[2:3]
	v_add_f64 v[56:57], v[12:13], -v[0:1]
	v_add_f64 v[58:59], v[14:15], -v[2:3]
	;; [unrolled: 1-line block ×6, first 2 shown]
	v_add_f64 v[0:1], v[48:49], v[16:17]
	v_add_f64 v[2:3], v[50:51], v[18:19]
	v_add_f64 v[64:65], v[48:49], -v[16:17]
	v_add_f64 v[16:17], v[16:17], -v[4:5]
	v_add_f64 v[28:29], v[28:29], v[52:53]
	v_add_f64 v[30:31], v[30:31], v[54:55]
	v_add_f64 v[66:67], v[50:51], -v[18:19]
	v_add_f64 v[48:49], v[4:5], -v[48:49]
	;; [unrolled: 1-line block ×4, first 2 shown]
	v_add_f64 v[4:5], v[0:1], v[4:5]
	v_add_f64 v[6:7], v[2:3], v[6:7]
	;; [unrolled: 1-line block ×4, first 2 shown]
	v_mul_f64 v[52:53], v[60:61], s[26:27]
	v_mul_f64 v[54:55], v[62:63], s[26:27]
	;; [unrolled: 1-line block ×8, first 2 shown]
	v_fma_f64 v[28:29], v[28:29], s[18:19], v[0:1]
	v_fma_f64 v[30:31], v[30:31], s[18:19], v[2:3]
	;; [unrolled: 1-line block ×4, first 2 shown]
	v_fma_f64 v[60:61], v[56:57], s[14:15], -v[60:61]
	v_fma_f64 v[62:63], v[58:59], s[14:15], -v[62:63]
	;; [unrolled: 1-line block ×4, first 2 shown]
	v_fma_f64 v[56:57], v[48:49], s[8:9], v[64:65]
	v_fma_f64 v[16:17], v[16:17], s[24:25], -v[64:65]
	v_fma_f64 v[48:49], v[48:49], s[22:23], v[68:69]
	v_fma_f64 v[58:59], v[50:51], s[8:9], v[66:67]
	v_fma_f64 v[18:19], v[18:19], s[24:25], -v[66:67]
	v_fma_f64 v[50:51], v[50:51], s[22:23], v[70:71]
	v_add_f64 v[12:13], v[12:13], v[28:29]
	v_add_f64 v[14:15], v[14:15], v[30:31]
	;; [unrolled: 1-line block ×6, first 2 shown]
	v_fma_f64 v[52:53], v[4:5], s[2:3], v[56:57]
	v_fma_f64 v[16:17], v[4:5], s[2:3], v[16:17]
	;; [unrolled: 1-line block ×6, first 2 shown]
	v_add_f64 v[48:49], v[142:143], v[136:137]
	v_add_f64 v[50:51], v[138:139], v[132:133]
	v_add_f64 v[66:67], v[14:15], -v[52:53]
	v_add_f64 v[70:71], v[16:17], v[62:63]
	v_add_f64 v[58:59], v[30:31], -v[4:5]
	v_add_f64 v[74:75], v[62:63], -v[16:17]
	v_add_f64 v[82:83], v[4:5], v[30:31]
	v_add_f64 v[4:5], v[148:149], v[242:243]
	;; [unrolled: 1-line block ×5, first 2 shown]
	v_add_f64 v[68:69], v[60:61], -v[18:19]
	v_add_f64 v[72:73], v[18:19], v[60:61]
	v_add_f64 v[80:81], v[28:29], -v[6:7]
	v_add_f64 v[92:93], v[12:13], -v[54:55]
	v_add_f64 v[94:95], v[52:53], v[14:15]
	v_add_f64 v[6:7], v[226:227], v[124:125]
	v_add_f64 v[14:15], v[226:227], -v[124:125]
	v_add_f64 v[18:19], v[140:141], v[128:129]
	v_add_f64 v[28:29], v[144:145], -v[238:239]
	v_add_f64 v[30:31], v[140:141], -v[128:129]
	;; [unrolled: 1-line block ×4, first 2 shown]
	v_add_f64 v[60:61], v[16:17], v[4:5]
	v_add_f64 v[12:13], v[148:149], -v[242:243]
	v_add_f64 v[76:77], v[16:17], -v[4:5]
	v_add_f64 v[62:63], v[18:19], v[6:7]
	v_add_f64 v[78:79], v[18:19], -v[6:7]
	v_add_f64 v[84:85], v[4:5], -v[48:49]
	;; [unrolled: 1-line block ×5, first 2 shown]
	v_add_f64 v[4:5], v[52:53], v[28:29]
	v_add_f64 v[6:7], v[54:55], v[30:31]
	v_add_f64 v[90:91], v[54:55], -v[30:31]
	v_add_f64 v[30:31], v[30:31], -v[14:15]
	v_add_f64 v[48:49], v[48:49], v[60:61]
	v_add_f64 v[88:89], v[52:53], -v[28:29]
	v_add_f64 v[52:53], v[12:13], -v[52:53]
	;; [unrolled: 1-line block ×4, first 2 shown]
	v_add_f64 v[50:51], v[50:51], v[62:63]
	v_add_f64 v[12:13], v[4:5], v[12:13]
	v_mul_f64 v[60:61], v[84:85], s[26:27]
	v_add_f64 v[4:5], v[246:247], v[48:49]
	v_mul_f64 v[62:63], v[86:87], s[26:27]
	v_mul_f64 v[84:85], v[16:17], s[6:7]
	;; [unrolled: 1-line block ×5, first 2 shown]
	v_add_f64 v[14:15], v[6:7], v[14:15]
	v_add_f64 v[6:7], v[248:249], v[50:51]
	v_mul_f64 v[88:89], v[88:89], s[20:21]
	v_mul_f64 v[96:97], v[28:29], s[4:5]
	v_fma_f64 v[48:49], v[48:49], s[18:19], v[4:5]
	v_fma_f64 v[16:17], v[16:17], s[6:7], v[60:61]
	;; [unrolled: 1-line block ×3, first 2 shown]
	v_fma_f64 v[84:85], v[76:77], s[14:15], -v[84:85]
	v_fma_f64 v[86:87], v[78:79], s[14:15], -v[86:87]
	;; [unrolled: 1-line block ×4, first 2 shown]
	v_fma_f64 v[78:79], v[54:55], s[8:9], v[90:91]
	v_fma_f64 v[30:31], v[30:31], s[24:25], -v[90:91]
	v_fma_f64 v[54:55], v[54:55], s[22:23], v[98:99]
	v_fma_f64 v[50:51], v[50:51], s[18:19], v[6:7]
	;; [unrolled: 1-line block ×3, first 2 shown]
	v_fma_f64 v[28:29], v[28:29], s[24:25], -v[88:89]
	v_fma_f64 v[52:53], v[52:53], s[22:23], v[96:97]
	v_add_f64 v[16:17], v[16:17], v[48:49]
	v_add_f64 v[84:85], v[84:85], v[48:49]
	;; [unrolled: 1-line block ×3, first 2 shown]
	v_fma_f64 v[96:97], v[14:15], s[2:3], v[78:79]
	v_fma_f64 v[30:31], v[14:15], s[2:3], v[30:31]
	;; [unrolled: 1-line block ×3, first 2 shown]
	v_add_f64 v[18:19], v[18:19], v[50:51]
	v_add_f64 v[86:87], v[86:87], v[50:51]
	;; [unrolled: 1-line block ×3, first 2 shown]
	v_fma_f64 v[98:99], v[12:13], s[2:3], v[76:77]
	v_fma_f64 v[28:29], v[12:13], s[2:3], v[28:29]
	;; [unrolled: 1-line block ×3, first 2 shown]
	v_add_f64 v[76:77], v[84:85], -v[30:31]
	v_add_f64 v[52:53], v[14:15], v[48:49]
	v_add_f64 v[84:85], v[30:31], v[84:85]
	v_add_f64 v[88:89], v[48:49], -v[14:15]
	v_add_f64 v[14:15], v[120:121], v[100:101]
	v_add_f64 v[30:31], v[118:119], v[104:105]
	;; [unrolled: 1-line block ×3, first 2 shown]
	v_add_f64 v[62:63], v[18:19], -v[98:99]
	v_add_f64 v[54:55], v[50:51], -v[12:13]
	v_add_f64 v[78:79], v[28:29], v[86:87]
	v_add_f64 v[86:87], v[86:87], -v[28:29]
	v_add_f64 v[90:91], v[12:13], v[50:51]
	;; [unrolled: 2-line block ×3, first 2 shown]
	v_add_f64 v[12:13], v[126:127], v[106:107]
	v_add_f64 v[16:17], v[126:127], -v[106:107]
	v_add_f64 v[18:19], v[120:121], -v[100:101]
	v_add_f64 v[28:29], v[122:123], v[110:111]
	v_add_f64 v[48:49], v[122:123], -v[110:111]
	v_add_f64 v[50:51], v[118:119], -v[104:105]
	;; [unrolled: 3-line block ×3, first 2 shown]
	v_add_f64 v[110:111], v[30:31], v[14:15]
	v_add_f64 v[114:115], v[30:31], -v[14:15]
	v_add_f64 v[108:109], v[28:29], v[12:13]
	v_add_f64 v[112:113], v[28:29], -v[12:13]
	v_add_f64 v[118:119], v[14:15], -v[102:103]
	;; [unrolled: 1-line block ×5, first 2 shown]
	v_add_f64 v[12:13], v[104:105], v[48:49]
	v_add_f64 v[14:15], v[106:107], v[50:51]
	v_add_f64 v[120:121], v[104:105], -v[48:49]
	v_add_f64 v[48:49], v[48:49], -v[16:17]
	v_add_f64 v[102:103], v[102:103], v[110:111]
	v_add_f64 v[122:123], v[106:107], -v[50:51]
	v_add_f64 v[104:105], v[16:17], -v[104:105]
	;; [unrolled: 1-line block ×4, first 2 shown]
	v_add_f64 v[100:101], v[100:101], v[108:109]
	v_add_f64 v[18:19], v[14:15], v[18:19]
	v_mul_f64 v[108:109], v[116:117], s[26:27]
	v_add_f64 v[14:15], v[218:219], v[102:103]
	v_mul_f64 v[110:111], v[118:119], s[26:27]
	v_mul_f64 v[116:117], v[28:29], s[6:7]
	v_mul_f64 v[118:119], v[30:31], s[6:7]
	v_mul_f64 v[120:121], v[120:121], s[20:21]
	v_mul_f64 v[124:125], v[48:49], s[4:5]
	v_add_f64 v[16:17], v[12:13], v[16:17]
	v_add_f64 v[12:13], v[216:217], v[100:101]
	v_mul_f64 v[122:123], v[122:123], s[20:21]
	v_mul_f64 v[126:127], v[50:51], s[4:5]
	v_fma_f64 v[102:103], v[102:103], s[18:19], v[14:15]
	v_fma_f64 v[28:29], v[28:29], s[6:7], v[108:109]
	;; [unrolled: 1-line block ×3, first 2 shown]
	v_fma_f64 v[116:117], v[112:113], s[14:15], -v[116:117]
	v_fma_f64 v[118:119], v[114:115], s[14:15], -v[118:119]
	;; [unrolled: 1-line block ×4, first 2 shown]
	v_fma_f64 v[112:113], v[104:105], s[8:9], v[120:121]
	v_fma_f64 v[48:49], v[48:49], s[24:25], -v[120:121]
	v_fma_f64 v[104:105], v[104:105], s[22:23], v[124:125]
	v_fma_f64 v[100:101], v[100:101], s[18:19], v[12:13]
	;; [unrolled: 1-line block ×3, first 2 shown]
	v_fma_f64 v[50:51], v[50:51], s[24:25], -v[122:123]
	v_fma_f64 v[106:107], v[106:107], s[22:23], v[126:127]
	v_add_f64 v[118:119], v[118:119], v[102:103]
	v_add_f64 v[122:123], v[110:111], v[102:103]
	v_fma_f64 v[124:125], v[16:17], s[2:3], v[112:113]
	v_fma_f64 v[48:49], v[16:17], s[2:3], v[48:49]
	;; [unrolled: 1-line block ×3, first 2 shown]
	v_add_f64 v[28:29], v[28:29], v[100:101]
	v_add_f64 v[30:31], v[30:31], v[102:103]
	;; [unrolled: 1-line block ×4, first 2 shown]
	v_fma_f64 v[126:127], v[18:19], s[2:3], v[114:115]
	v_fma_f64 v[50:51], v[18:19], s[2:3], v[50:51]
	;; [unrolled: 1-line block ×3, first 2 shown]
	v_add_f64 v[102:103], v[122:123], -v[16:17]
	v_add_f64 v[110:111], v[48:49], v[118:119]
	v_add_f64 v[114:115], v[118:119], -v[48:49]
	v_add_f64 v[118:119], v[16:17], v[122:123]
	v_add_f64 v[16:17], v[180:181], v[130:131]
	;; [unrolled: 1-line block ×4, first 2 shown]
	v_add_f64 v[106:107], v[30:31], -v[124:125]
	v_add_f64 v[100:101], v[18:19], v[120:121]
	v_add_f64 v[108:109], v[116:117], -v[50:51]
	v_add_f64 v[112:113], v[50:51], v[116:117]
	v_add_f64 v[116:117], v[120:121], -v[18:19]
	v_add_f64 v[120:121], v[28:29], -v[126:127]
	v_add_f64 v[122:123], v[124:125], v[30:31]
	v_add_f64 v[18:19], v[174:175], v[146:147]
	v_add_f64 v[28:29], v[180:181], -v[130:131]
	v_add_f64 v[50:51], v[170:171], v[134:135]
	v_add_f64 v[124:125], v[176:177], -v[150:151]
	v_add_f64 v[126:127], v[170:171], -v[134:135]
	v_add_f64 v[128:129], v[182:183], v[154:155]
	v_add_f64 v[130:131], v[178:179], v[152:153]
	v_add_f64 v[132:133], v[154:155], -v[182:183]
	v_add_f64 v[134:135], v[152:153], -v[178:179]
	v_add_f64 v[136:137], v[48:49], v[16:17]
	v_add_f64 v[30:31], v[174:175], -v[146:147]
	v_add_f64 v[138:139], v[50:51], v[18:19]
	v_add_f64 v[140:141], v[48:49], -v[16:17]
	v_add_f64 v[142:143], v[50:51], -v[18:19]
	;; [unrolled: 1-line block ×6, first 2 shown]
	v_add_f64 v[16:17], v[132:133], v[124:125]
	v_add_f64 v[150:151], v[134:135], -v[126:127]
	v_add_f64 v[128:129], v[128:129], v[136:137]
	v_add_f64 v[18:19], v[134:135], v[126:127]
	v_add_f64 v[148:149], v[132:133], -v[124:125]
	v_add_f64 v[132:133], v[28:29], -v[132:133]
	;; [unrolled: 1-line block ×5, first 2 shown]
	v_add_f64 v[130:131], v[130:131], v[138:139]
	v_add_f64 v[28:29], v[16:17], v[28:29]
	v_add_f64 v[16:17], v[200:201], v[128:129]
	v_mul_f64 v[136:137], v[144:145], s[26:27]
	v_mul_f64 v[138:139], v[146:147], s[26:27]
	;; [unrolled: 1-line block ×5, first 2 shown]
	v_add_f64 v[30:31], v[18:19], v[30:31]
	v_add_f64 v[18:19], v[202:203], v[130:131]
	v_mul_f64 v[148:149], v[148:149], s[20:21]
	v_mul_f64 v[152:153], v[124:125], s[4:5]
	;; [unrolled: 1-line block ×3, first 2 shown]
	v_fma_f64 v[128:129], v[128:129], s[18:19], v[16:17]
	v_fma_f64 v[48:49], v[48:49], s[6:7], v[136:137]
	;; [unrolled: 1-line block ×3, first 2 shown]
	v_fma_f64 v[144:145], v[140:141], s[14:15], -v[144:145]
	v_fma_f64 v[146:147], v[142:143], s[14:15], -v[146:147]
	;; [unrolled: 1-line block ×4, first 2 shown]
	v_fma_f64 v[142:143], v[134:135], s[8:9], v[150:151]
	v_fma_f64 v[126:127], v[126:127], s[24:25], -v[150:151]
	v_fma_f64 v[130:131], v[130:131], s[18:19], v[18:19]
	v_fma_f64 v[140:141], v[132:133], s[8:9], v[148:149]
	v_fma_f64 v[124:125], v[124:125], s[24:25], -v[148:149]
	v_fma_f64 v[132:133], v[132:133], s[22:23], v[152:153]
	v_fma_f64 v[134:135], v[134:135], s[22:23], v[154:155]
	v_add_f64 v[48:49], v[48:49], v[128:129]
	v_add_f64 v[144:145], v[144:145], v[128:129]
	;; [unrolled: 1-line block ×3, first 2 shown]
	v_fma_f64 v[154:155], v[30:31], s[2:3], v[142:143]
	v_fma_f64 v[136:137], v[30:31], s[2:3], v[126:127]
	v_add_f64 v[150:151], v[138:139], v[130:131]
	v_fma_f64 v[152:153], v[28:29], s[2:3], v[140:141]
	v_fma_f64 v[138:139], v[28:29], s[2:3], v[124:125]
	v_fma_f64 v[28:29], v[28:29], s[2:3], v[132:133]
	v_fma_f64 v[30:31], v[30:31], s[2:3], v[134:135]
	v_add_f64 v[50:51], v[50:51], v[130:131]
	v_add_f64 v[128:129], v[154:155], v[48:49]
	v_add_f64 v[132:133], v[144:145], -v[136:137]
	v_add_f64 v[136:137], v[136:137], v[144:145]
	v_add_f64 v[144:145], v[48:49], -v[154:155]
	buffer_load_dword v48, off, s[40:43], 0 offset:2924 ; 4-byte Folded Reload
	buffer_load_dword v49, off, s[40:43], 0 offset:2928 ; 4-byte Folded Reload
	;; [unrolled: 1-line block ×4, first 2 shown]
	v_add_f64 v[146:147], v[146:147], v[130:131]
	v_add_f64 v[124:125], v[30:31], v[148:149]
	v_add_f64 v[126:127], v[150:151], -v[28:29]
	v_add_f64 v[140:141], v[148:149], -v[30:31]
	v_add_f64 v[142:143], v[28:29], v[150:151]
	v_add_f64 v[30:31], v[240:241], v[184:185]
	;; [unrolled: 1-line block ×4, first 2 shown]
	v_add_f64 v[130:131], v[50:51], -v[152:153]
	v_add_f64 v[134:135], v[138:139], v[146:147]
	v_add_f64 v[138:139], v[146:147], -v[138:139]
	v_add_f64 v[146:147], v[152:153], v[50:51]
	v_add_f64 v[152:153], v[236:237], -v[190:191]
	v_add_f64 v[154:155], v[224:225], -v[188:189]
	v_add_f64 v[158:159], v[244:245], v[192:193]
	v_add_f64 v[162:163], v[192:193], -v[244:245]
	v_add_f64 v[166:167], v[150:151], v[30:31]
	v_add_f64 v[50:51], v[240:241], -v[184:185]
	v_add_f64 v[170:171], v[150:151], -v[30:31]
	;; [unrolled: 1-line block ×4, first 2 shown]
	v_add_f64 v[30:31], v[162:163], v[154:155]
	v_add_f64 v[178:179], v[162:163], -v[154:155]
	v_add_f64 v[158:159], v[158:159], v[166:167]
	v_add_f64 v[162:163], v[50:51], -v[162:163]
	v_add_f64 v[154:155], v[154:155], -v[50:51]
	v_mul_f64 v[166:167], v[174:175], s[26:27]
	v_mul_f64 v[174:175], v[150:151], s[6:7]
	v_add_f64 v[50:51], v[30:31], v[50:51]
	v_mul_f64 v[178:179], v[178:179], s[20:21]
	v_add_f64 v[30:31], v[206:207], v[158:159]
	v_mul_f64 v[182:183], v[154:155], s[4:5]
	v_fma_f64 v[150:151], v[150:151], s[6:7], v[166:167]
	v_fma_f64 v[174:175], v[170:171], s[14:15], -v[174:175]
	v_fma_f64 v[166:167], v[170:171], s[16:17], -v[166:167]
	v_fma_f64 v[170:171], v[162:163], s[8:9], v[178:179]
	v_fma_f64 v[158:159], v[158:159], s[18:19], v[30:31]
	v_fma_f64 v[154:155], v[154:155], s[24:25], -v[178:179]
	v_fma_f64 v[162:163], v[162:163], s[22:23], v[182:183]
	v_add_f64 v[178:179], v[150:151], v[158:159]
	v_add_f64 v[174:175], v[174:175], v[158:159]
	v_fma_f64 v[182:183], v[50:51], s[2:3], v[154:155]
	v_add_f64 v[166:167], v[166:167], v[158:159]
	s_waitcnt vmcnt(2)
	v_add_f64 v[28:29], v[48:49], v[186:187]
	s_waitcnt vmcnt(0)
	v_add_f64 v[156:157], v[160:161], v[194:195]
	v_add_f64 v[160:161], v[194:195], -v[160:161]
	v_add_f64 v[48:49], v[48:49], -v[186:187]
	v_add_f64 v[164:165], v[148:149], v[28:29]
	v_add_f64 v[168:169], v[148:149], -v[28:29]
	v_add_f64 v[172:173], v[28:29], -v[156:157]
	v_add_f64 v[148:149], v[156:157], -v[148:149]
	v_add_f64 v[28:29], v[160:161], v[152:153]
	v_add_f64 v[176:177], v[160:161], -v[152:153]
	v_add_f64 v[160:161], v[48:49], -v[160:161]
	;; [unrolled: 1-line block ×3, first 2 shown]
	v_add_f64 v[156:157], v[156:157], v[164:165]
	v_mul_f64 v[164:165], v[172:173], s[26:27]
	v_mul_f64 v[172:173], v[148:149], s[6:7]
	v_add_f64 v[48:49], v[28:29], v[48:49]
	v_mul_f64 v[176:177], v[176:177], s[20:21]
	v_mul_f64 v[180:181], v[152:153], s[4:5]
	v_add_f64 v[28:29], v[204:205], v[156:157]
	v_fma_f64 v[148:149], v[148:149], s[6:7], v[164:165]
	v_fma_f64 v[172:173], v[168:169], s[14:15], -v[172:173]
	v_fma_f64 v[164:165], v[168:169], s[16:17], -v[164:165]
	v_fma_f64 v[168:169], v[160:161], s[8:9], v[176:177]
	v_fma_f64 v[152:153], v[152:153], s[24:25], -v[176:177]
	v_fma_f64 v[160:161], v[160:161], s[22:23], v[180:181]
	v_fma_f64 v[156:157], v[156:157], s[18:19], v[28:29]
	;; [unrolled: 1-line block ×5, first 2 shown]
	v_add_f64 v[172:173], v[172:173], v[156:157]
	v_add_f64 v[176:177], v[148:149], v[156:157]
	;; [unrolled: 1-line block ×3, first 2 shown]
	v_fma_f64 v[48:49], v[48:49], s[2:3], v[160:161]
	v_fma_f64 v[50:51], v[50:51], s[2:3], v[162:163]
	v_add_f64 v[154:155], v[178:179], -v[180:181]
	v_add_f64 v[158:159], v[170:171], v[174:175]
	v_add_f64 v[156:157], v[172:173], -v[182:183]
	v_add_f64 v[160:161], v[182:183], v[172:173]
	;; [unrolled: 2-line block ×3, first 2 shown]
	buffer_load_dword v172, off, s[40:43], 0 offset:2900 ; 4-byte Folded Reload
	buffer_load_dword v173, off, s[40:43], 0 offset:2904 ; 4-byte Folded Reload
	;; [unrolled: 1-line block ×14, first 2 shown]
	v_add_f64 v[152:153], v[168:169], v[176:177]
	v_add_f64 v[148:149], v[50:51], v[164:165]
	v_add_f64 v[150:151], v[166:167], -v[48:49]
	v_add_f64 v[164:165], v[164:165], -v[50:51]
	v_add_f64 v[166:167], v[48:49], v[166:167]
	v_add_f64 v[168:169], v[176:177], -v[168:169]
	s_waitcnt vmcnt(12)
	v_add_f64 v[48:49], v[230:231], v[172:173]
	s_waitcnt vmcnt(10)
	v_add_f64 v[50:51], v[234:235], v[174:175]
	;; [unrolled: 2-line block ×4, first 2 shown]
	v_add_f64 v[172:173], v[230:231], -v[172:173]
	v_add_f64 v[174:175], v[234:235], -v[174:175]
	v_add_f64 v[180:181], v[232:233], -v[180:181]
	v_add_f64 v[182:183], v[182:183], -v[184:185]
	s_waitcnt vmcnt(2)
	v_add_f64 v[184:185], v[197:198], v[188:189]
	s_waitcnt vmcnt(0)
	v_add_f64 v[186:187], v[228:229], v[190:191]
	v_add_f64 v[188:189], v[188:189], -v[197:198]
	v_add_f64 v[190:191], v[190:191], -v[228:229]
	v_add_f64 v[192:193], v[176:177], v[48:49]
	v_add_f64 v[194:195], v[178:179], v[50:51]
	v_add_f64 v[198:199], v[176:177], -v[48:49]
	v_add_f64 v[200:201], v[178:179], -v[50:51]
	;; [unrolled: 1-line block ×6, first 2 shown]
	v_add_f64 v[48:49], v[188:189], v[180:181]
	v_add_f64 v[50:51], v[190:191], v[182:183]
	v_add_f64 v[206:207], v[188:189], -v[180:181]
	v_add_f64 v[208:209], v[190:191], -v[182:183]
	;; [unrolled: 1-line block ×4, first 2 shown]
	v_add_f64 v[184:185], v[184:185], v[192:193]
	v_add_f64 v[186:187], v[186:187], v[194:195]
	v_add_f64 v[188:189], v[172:173], -v[188:189]
	v_add_f64 v[190:191], v[174:175], -v[190:191]
	v_add_f64 v[172:173], v[48:49], v[172:173]
	v_add_f64 v[174:175], v[50:51], v[174:175]
	v_mul_f64 v[192:193], v[202:203], s[26:27]
	v_mul_f64 v[194:195], v[204:205], s[26:27]
	v_add_f64 v[48:49], v[220:221], v[184:185]
	v_add_f64 v[50:51], v[222:223], v[186:187]
	v_mul_f64 v[202:203], v[176:177], s[6:7]
	v_mul_f64 v[204:205], v[178:179], s[6:7]
	;; [unrolled: 1-line block ×6, first 2 shown]
	v_fma_f64 v[184:185], v[184:185], s[18:19], v[48:49]
	v_fma_f64 v[186:187], v[186:187], s[18:19], v[50:51]
	;; [unrolled: 1-line block ×4, first 2 shown]
	v_fma_f64 v[202:203], v[198:199], s[14:15], -v[202:203]
	v_fma_f64 v[204:205], v[200:201], s[14:15], -v[204:205]
	;; [unrolled: 1-line block ×4, first 2 shown]
	v_fma_f64 v[198:199], v[188:189], s[8:9], v[206:207]
	v_fma_f64 v[200:201], v[190:191], s[8:9], v[208:209]
	v_fma_f64 v[180:181], v[180:181], s[24:25], -v[206:207]
	v_fma_f64 v[182:183], v[182:183], s[24:25], -v[208:209]
	v_fma_f64 v[188:189], v[188:189], s[22:23], v[210:211]
	v_fma_f64 v[190:191], v[190:191], s[22:23], v[212:213]
	v_add_f64 v[206:207], v[176:177], v[184:185]
	v_add_f64 v[208:209], v[178:179], v[186:187]
	;; [unrolled: 1-line block ×6, first 2 shown]
	v_fma_f64 v[198:199], v[172:173], s[2:3], v[198:199]
	v_fma_f64 v[200:201], v[174:175], s[2:3], v[200:201]
	;; [unrolled: 1-line block ×6, first 2 shown]
	s_mov_b32 s3, 0x9610
	s_mov_b32 s21, 0x3fe11646
	v_add_f64 v[174:175], v[208:209], -v[198:199]
	v_add_f64 v[172:173], v[200:201], v[206:207]
	v_add_f64 v[182:183], v[186:187], v[204:205]
	v_add_f64 v[180:181], v[202:203], -v[184:185]
	v_add_f64 v[178:179], v[194:195], -v[210:211]
	v_add_f64 v[176:177], v[188:189], v[192:193]
	v_add_f64 v[184:185], v[184:185], v[202:203]
	v_add_f64 v[186:187], v[204:205], -v[186:187]
	v_add_f64 v[188:189], v[192:193], -v[188:189]
	v_add_f64 v[190:191], v[210:211], v[194:195]
	v_add_f64 v[192:193], v[206:207], -v[200:201]
	v_add_f64 v[194:195], v[198:199], v[208:209]
	ds_write_b128 v196, v[8:11]
	ds_write_b128 v196, v[40:43] offset:5488
	ds_write_b128 v196, v[44:47] offset:10976
	ds_write_b128 v196, v[36:39] offset:16464
	ds_write_b128 v196, v[32:35] offset:21952
	ds_write_b128 v196, v[24:27] offset:27440
	ds_write_b128 v196, v[20:23] offset:32928
	ds_write_b128 v196, v[0:3] offset:784
	ds_write_b128 v196, v[64:67] offset:6272
	ds_write_b128 v196, v[56:59] offset:11760
	ds_write_b128 v196, v[68:71] offset:17248
	ds_write_b128 v196, v[72:75] offset:22736
	ds_write_b128 v196, v[80:83] offset:28224
	ds_write_b128 v196, v[92:95] offset:33712
	ds_write_b128 v196, v[4:7] offset:1568
	ds_write_b128 v196, v[60:63] offset:7056
	ds_write_b128 v196, v[52:55] offset:12544
	ds_write_b128 v196, v[76:79] offset:18032
	ds_write_b128 v196, v[84:87] offset:23520
	ds_write_b128 v196, v[88:91] offset:29008
	ds_write_b128 v196, v[96:99] offset:34496
	ds_write_b128 v196, v[12:15] offset:2352
	ds_write_b128 v196, v[104:107] offset:7840
	ds_write_b128 v196, v[100:103] offset:13328
	ds_write_b128 v196, v[108:111] offset:18816
	ds_write_b128 v196, v[112:115] offset:24304
	ds_write_b128 v196, v[116:119] offset:29792
	ds_write_b128 v196, v[120:123] offset:35280
	ds_write_b128 v196, v[16:19] offset:3136
	ds_write_b128 v196, v[128:131] offset:8624
	ds_write_b128 v196, v[124:127] offset:14112
	ds_write_b128 v196, v[132:135] offset:19600
	ds_write_b128 v196, v[136:139] offset:25088
	ds_write_b128 v196, v[140:143] offset:30576
	ds_write_b128 v196, v[144:147] offset:36064
	ds_write_b128 v196, v[28:31] offset:3920
	ds_write_b128 v196, v[152:155] offset:9408
	ds_write_b128 v196, v[148:151] offset:14896
	ds_write_b128 v196, v[156:159] offset:20384
	ds_write_b128 v196, v[160:163] offset:25872
	ds_write_b128 v196, v[164:167] offset:31360
	ds_write_b128 v196, v[168:171] offset:36848
	ds_write_b128 v196, v[48:51] offset:4704
	ds_write_b128 v196, v[172:175] offset:10192
	ds_write_b128 v196, v[176:179] offset:15680
	ds_write_b128 v196, v[180:183] offset:21168
	ds_write_b128 v196, v[184:187] offset:26656
	ds_write_b128 v196, v[188:191] offset:32144
	ds_write_b128 v196, v[192:195] offset:37632
	s_waitcnt lgkmcnt(0)
	; wave barrier
	s_waitcnt lgkmcnt(0)
	ds_read_b128 v[0:3], v196
	buffer_load_dword v30, off, s[40:43], 0 offset:2852 ; 4-byte Folded Reload
	buffer_load_dword v31, off, s[40:43], 0 offset:2856 ; 4-byte Folded Reload
	;; [unrolled: 1-line block ×4, first 2 shown]
	s_waitcnt vmcnt(3)
	v_add_co_u32_e32 v10, vcc, s3, v30
	s_waitcnt vmcnt(0)
	global_load_dwordx4 v[4:7], v[4:5], off offset:1552
	v_addc_co_u32_e32 v11, vcc, 0, v31, vcc
	s_mov_b32 s3, 0xa000
	s_waitcnt vmcnt(0) lgkmcnt(0)
	v_mul_f64 v[8:9], v[2:3], v[6:7]
	v_fma_f64 v[12:13], v[0:1], v[4:5], -v[8:9]
	v_mul_f64 v[0:1], v[0:1], v[6:7]
	v_fma_f64 v[14:15], v[2:3], v[4:5], v[0:1]
	v_add_co_u32_e32 v0, vcc, s3, v30
	v_addc_co_u32_e32 v1, vcc, 0, v31, vcc
	global_load_dwordx4 v[6:9], v[0:1], off offset:2944
	ds_read_b128 v[2:5], v196 offset:5488
	s_mov_b32 s3, 0xc000
	ds_write_b128 v196, v[12:15]
	s_waitcnt vmcnt(0) lgkmcnt(1)
	v_mul_f64 v[12:13], v[4:5], v[8:9]
	v_fma_f64 v[12:13], v[2:3], v[6:7], -v[12:13]
	v_mul_f64 v[2:3], v[2:3], v[8:9]
	v_fma_f64 v[14:15], v[4:5], v[6:7], v[2:3]
	v_add_co_u32_e32 v4, vcc, s3, v30
	v_addc_co_u32_e32 v5, vcc, 0, v31, vcc
	ds_read_b128 v[6:9], v196 offset:10976
	s_mov_b32 s3, 0xd000
	ds_write_b128 v196, v[12:15] offset:5488
	global_load_dwordx4 v[12:15], v[4:5], off offset:240
	s_waitcnt vmcnt(0) lgkmcnt(1)
	v_mul_f64 v[2:3], v[8:9], v[14:15]
	v_fma_f64 v[16:17], v[6:7], v[12:13], -v[2:3]
	v_mul_f64 v[2:3], v[6:7], v[14:15]
	v_fma_f64 v[18:19], v[8:9], v[12:13], v[2:3]
	v_add_co_u32_e32 v2, vcc, s3, v30
	v_addc_co_u32_e32 v3, vcc, 0, v31, vcc
	global_load_dwordx4 v[12:15], v[2:3], off offset:1632
	ds_read_b128 v[6:9], v196 offset:16464
	s_mov_b32 s3, 0xe000
	ds_write_b128 v196, v[16:19] offset:10976
	s_waitcnt vmcnt(0) lgkmcnt(1)
	v_mul_f64 v[16:17], v[8:9], v[14:15]
	v_fma_f64 v[16:17], v[6:7], v[12:13], -v[16:17]
	v_mul_f64 v[6:7], v[6:7], v[14:15]
	v_fma_f64 v[18:19], v[8:9], v[12:13], v[6:7]
	v_add_co_u32_e32 v6, vcc, s3, v30
	v_addc_co_u32_e32 v7, vcc, 0, v31, vcc
	ds_read_b128 v[12:15], v196 offset:21952
	s_mov_b32 s3, 0x10000
	ds_write_b128 v196, v[16:19] offset:16464
	global_load_dwordx4 v[16:19], v[6:7], off offset:3024
	s_waitcnt vmcnt(0) lgkmcnt(1)
	v_mul_f64 v[8:9], v[14:15], v[18:19]
	v_fma_f64 v[20:21], v[12:13], v[16:17], -v[8:9]
	v_mul_f64 v[8:9], v[12:13], v[18:19]
	v_add_co_u32_e32 v12, vcc, s3, v30
	v_addc_co_u32_e32 v13, vcc, 0, v31, vcc
	s_mov_b32 s3, 0x11000
	v_fma_f64 v[22:23], v[14:15], v[16:17], v[8:9]
	ds_read_b128 v[14:17], v196 offset:27440
	ds_write_b128 v196, v[20:23] offset:21952
	global_load_dwordx4 v[18:21], v[12:13], off offset:320
	s_waitcnt vmcnt(0) lgkmcnt(1)
	v_mul_f64 v[8:9], v[16:17], v[20:21]
	v_fma_f64 v[22:23], v[14:15], v[18:19], -v[8:9]
	v_mul_f64 v[8:9], v[14:15], v[20:21]
	v_fma_f64 v[24:25], v[16:17], v[18:19], v[8:9]
	v_add_co_u32_e32 v8, vcc, s3, v30
	v_addc_co_u32_e32 v9, vcc, 0, v31, vcc
	global_load_dwordx4 v[18:21], v[8:9], off offset:1712
	ds_read_b128 v[14:17], v196 offset:32928
	s_mov_b32 s3, 0xb000
	ds_write_b128 v196, v[22:25] offset:27440
	v_add_co_u32_e32 v26, vcc, s3, v30
	v_addc_co_u32_e32 v27, vcc, 0, v31, vcc
	s_mov_b32 s3, 0xf000
	v_add_co_u32_e32 v28, vcc, s3, v30
	v_addc_co_u32_e32 v29, vcc, 0, v31, vcc
	s_mov_b32 s3, 0x12000
	s_waitcnt vmcnt(0) lgkmcnt(1)
	v_mul_f64 v[22:23], v[16:17], v[20:21]
	v_fma_f64 v[22:23], v[14:15], v[18:19], -v[22:23]
	v_mul_f64 v[14:15], v[14:15], v[20:21]
	v_fma_f64 v[24:25], v[16:17], v[18:19], v[14:15]
	global_load_dwordx4 v[18:21], v[10:11], off offset:784
	ds_read_b128 v[14:17], v196 offset:784
	ds_write_b128 v196, v[22:25] offset:32928
	s_waitcnt vmcnt(0) lgkmcnt(1)
	v_mul_f64 v[22:23], v[16:17], v[20:21]
	v_fma_f64 v[22:23], v[14:15], v[18:19], -v[22:23]
	v_mul_f64 v[14:15], v[14:15], v[20:21]
	v_fma_f64 v[24:25], v[16:17], v[18:19], v[14:15]
	global_load_dwordx4 v[18:21], v[0:1], off offset:3728
	ds_read_b128 v[14:17], v196 offset:6272
	ds_write_b128 v196, v[22:25] offset:784
	s_waitcnt vmcnt(0) lgkmcnt(1)
	v_mul_f64 v[22:23], v[16:17], v[20:21]
	v_fma_f64 v[22:23], v[14:15], v[18:19], -v[22:23]
	v_mul_f64 v[14:15], v[14:15], v[20:21]
	v_fma_f64 v[24:25], v[16:17], v[18:19], v[14:15]
	global_load_dwordx4 v[18:21], v[4:5], off offset:1024
	ds_read_b128 v[14:17], v196 offset:11760
	ds_write_b128 v196, v[22:25] offset:6272
	s_waitcnt vmcnt(0) lgkmcnt(1)
	v_mul_f64 v[22:23], v[16:17], v[20:21]
	v_fma_f64 v[22:23], v[14:15], v[18:19], -v[22:23]
	v_mul_f64 v[14:15], v[14:15], v[20:21]
	v_fma_f64 v[24:25], v[16:17], v[18:19], v[14:15]
	global_load_dwordx4 v[18:21], v[2:3], off offset:2416
	ds_read_b128 v[14:17], v196 offset:17248
	ds_write_b128 v196, v[22:25] offset:11760
	s_waitcnt vmcnt(0) lgkmcnt(1)
	v_mul_f64 v[22:23], v[16:17], v[20:21]
	v_fma_f64 v[22:23], v[14:15], v[18:19], -v[22:23]
	v_mul_f64 v[14:15], v[14:15], v[20:21]
	v_fma_f64 v[24:25], v[16:17], v[18:19], v[14:15]
	global_load_dwordx4 v[18:21], v[6:7], off offset:3808
	ds_read_b128 v[14:17], v196 offset:22736
	ds_write_b128 v196, v[22:25] offset:17248
	s_waitcnt vmcnt(0) lgkmcnt(1)
	v_mul_f64 v[22:23], v[16:17], v[20:21]
	v_fma_f64 v[22:23], v[14:15], v[18:19], -v[22:23]
	v_mul_f64 v[14:15], v[14:15], v[20:21]
	v_fma_f64 v[24:25], v[16:17], v[18:19], v[14:15]
	global_load_dwordx4 v[18:21], v[12:13], off offset:1104
	ds_read_b128 v[14:17], v196 offset:28224
	ds_write_b128 v196, v[22:25] offset:22736
	s_waitcnt vmcnt(0) lgkmcnt(1)
	v_mul_f64 v[22:23], v[16:17], v[20:21]
	v_fma_f64 v[22:23], v[14:15], v[18:19], -v[22:23]
	v_mul_f64 v[14:15], v[14:15], v[20:21]
	v_fma_f64 v[24:25], v[16:17], v[18:19], v[14:15]
	global_load_dwordx4 v[18:21], v[8:9], off offset:2496
	ds_read_b128 v[14:17], v196 offset:33712
	ds_write_b128 v196, v[22:25] offset:28224
	s_waitcnt vmcnt(0) lgkmcnt(1)
	v_mul_f64 v[22:23], v[16:17], v[20:21]
	v_fma_f64 v[22:23], v[14:15], v[18:19], -v[22:23]
	v_mul_f64 v[14:15], v[14:15], v[20:21]
	v_fma_f64 v[24:25], v[16:17], v[18:19], v[14:15]
	global_load_dwordx4 v[18:21], v[10:11], off offset:1568
	ds_read_b128 v[14:17], v196 offset:1568
	ds_write_b128 v196, v[22:25] offset:33712
	s_waitcnt vmcnt(0) lgkmcnt(1)
	v_mul_f64 v[22:23], v[16:17], v[20:21]
	v_fma_f64 v[22:23], v[14:15], v[18:19], -v[22:23]
	v_mul_f64 v[14:15], v[14:15], v[20:21]
	v_fma_f64 v[24:25], v[16:17], v[18:19], v[14:15]
	global_load_dwordx4 v[18:21], v[26:27], off offset:416
	ds_read_b128 v[14:17], v196 offset:7056
	ds_write_b128 v196, v[22:25] offset:1568
	s_waitcnt vmcnt(0) lgkmcnt(1)
	v_mul_f64 v[22:23], v[16:17], v[20:21]
	v_fma_f64 v[22:23], v[14:15], v[18:19], -v[22:23]
	v_mul_f64 v[14:15], v[14:15], v[20:21]
	v_fma_f64 v[24:25], v[16:17], v[18:19], v[14:15]
	global_load_dwordx4 v[18:21], v[4:5], off offset:1808
	ds_read_b128 v[14:17], v196 offset:12544
	ds_write_b128 v196, v[22:25] offset:7056
	s_waitcnt vmcnt(0) lgkmcnt(1)
	v_mul_f64 v[22:23], v[16:17], v[20:21]
	v_fma_f64 v[22:23], v[14:15], v[18:19], -v[22:23]
	v_mul_f64 v[14:15], v[14:15], v[20:21]
	v_fma_f64 v[24:25], v[16:17], v[18:19], v[14:15]
	global_load_dwordx4 v[18:21], v[2:3], off offset:3200
	ds_read_b128 v[14:17], v196 offset:18032
	ds_write_b128 v196, v[22:25] offset:12544
	s_waitcnt vmcnt(0) lgkmcnt(1)
	v_mul_f64 v[22:23], v[16:17], v[20:21]
	v_fma_f64 v[22:23], v[14:15], v[18:19], -v[22:23]
	v_mul_f64 v[14:15], v[14:15], v[20:21]
	v_fma_f64 v[24:25], v[16:17], v[18:19], v[14:15]
	global_load_dwordx4 v[18:21], v[28:29], off offset:496
	ds_read_b128 v[14:17], v196 offset:23520
	ds_write_b128 v196, v[22:25] offset:18032
	s_waitcnt vmcnt(0) lgkmcnt(1)
	v_mul_f64 v[22:23], v[16:17], v[20:21]
	v_fma_f64 v[22:23], v[14:15], v[18:19], -v[22:23]
	v_mul_f64 v[14:15], v[14:15], v[20:21]
	v_fma_f64 v[24:25], v[16:17], v[18:19], v[14:15]
	global_load_dwordx4 v[18:21], v[12:13], off offset:1888
	ds_read_b128 v[14:17], v196 offset:29008
	ds_write_b128 v196, v[22:25] offset:23520
	s_waitcnt vmcnt(0) lgkmcnt(1)
	v_mul_f64 v[22:23], v[16:17], v[20:21]
	v_fma_f64 v[22:23], v[14:15], v[18:19], -v[22:23]
	v_mul_f64 v[14:15], v[14:15], v[20:21]
	v_fma_f64 v[24:25], v[16:17], v[18:19], v[14:15]
	global_load_dwordx4 v[18:21], v[8:9], off offset:3280
	ds_read_b128 v[14:17], v196 offset:34496
	ds_write_b128 v196, v[22:25] offset:29008
	s_waitcnt vmcnt(0) lgkmcnt(1)
	v_mul_f64 v[22:23], v[16:17], v[20:21]
	v_fma_f64 v[22:23], v[14:15], v[18:19], -v[22:23]
	v_mul_f64 v[14:15], v[14:15], v[20:21]
	v_fma_f64 v[24:25], v[16:17], v[18:19], v[14:15]
	global_load_dwordx4 v[18:21], v[10:11], off offset:2352
	ds_read_b128 v[14:17], v196 offset:2352
	ds_write_b128 v196, v[22:25] offset:34496
	s_waitcnt vmcnt(0) lgkmcnt(1)
	v_mul_f64 v[22:23], v[16:17], v[20:21]
	v_fma_f64 v[22:23], v[14:15], v[18:19], -v[22:23]
	v_mul_f64 v[14:15], v[14:15], v[20:21]
	v_fma_f64 v[24:25], v[16:17], v[18:19], v[14:15]
	global_load_dwordx4 v[18:21], v[26:27], off offset:1200
	ds_read_b128 v[14:17], v196 offset:7840
	ds_write_b128 v196, v[22:25] offset:2352
	s_waitcnt vmcnt(0) lgkmcnt(1)
	v_mul_f64 v[22:23], v[16:17], v[20:21]
	v_fma_f64 v[22:23], v[14:15], v[18:19], -v[22:23]
	v_mul_f64 v[14:15], v[14:15], v[20:21]
	v_fma_f64 v[24:25], v[16:17], v[18:19], v[14:15]
	global_load_dwordx4 v[18:21], v[4:5], off offset:2592
	ds_read_b128 v[14:17], v196 offset:13328
	ds_write_b128 v196, v[22:25] offset:7840
	s_waitcnt vmcnt(0) lgkmcnt(1)
	v_mul_f64 v[22:23], v[16:17], v[20:21]
	v_fma_f64 v[22:23], v[14:15], v[18:19], -v[22:23]
	v_mul_f64 v[14:15], v[14:15], v[20:21]
	v_fma_f64 v[24:25], v[16:17], v[18:19], v[14:15]
	global_load_dwordx4 v[18:21], v[2:3], off offset:3984
	ds_read_b128 v[14:17], v196 offset:18816
	ds_write_b128 v196, v[22:25] offset:13328
	s_waitcnt vmcnt(0) lgkmcnt(1)
	v_mul_f64 v[22:23], v[16:17], v[20:21]
	v_fma_f64 v[22:23], v[14:15], v[18:19], -v[22:23]
	v_mul_f64 v[14:15], v[14:15], v[20:21]
	v_fma_f64 v[24:25], v[16:17], v[18:19], v[14:15]
	global_load_dwordx4 v[18:21], v[28:29], off offset:1280
	ds_read_b128 v[14:17], v196 offset:24304
	ds_write_b128 v196, v[22:25] offset:18816
	s_waitcnt vmcnt(0) lgkmcnt(1)
	v_mul_f64 v[22:23], v[16:17], v[20:21]
	v_fma_f64 v[22:23], v[14:15], v[18:19], -v[22:23]
	v_mul_f64 v[14:15], v[14:15], v[20:21]
	v_fma_f64 v[24:25], v[16:17], v[18:19], v[14:15]
	global_load_dwordx4 v[18:21], v[12:13], off offset:2672
	ds_read_b128 v[14:17], v196 offset:29792
	ds_write_b128 v196, v[22:25] offset:24304
	s_waitcnt vmcnt(0) lgkmcnt(1)
	v_mul_f64 v[22:23], v[16:17], v[20:21]
	v_fma_f64 v[22:23], v[14:15], v[18:19], -v[22:23]
	v_mul_f64 v[14:15], v[14:15], v[20:21]
	v_fma_f64 v[24:25], v[16:17], v[18:19], v[14:15]
	global_load_dwordx4 v[18:21], v[8:9], off offset:4064
	ds_read_b128 v[14:17], v196 offset:35280
	ds_write_b128 v196, v[22:25] offset:29792
	s_waitcnt vmcnt(0) lgkmcnt(1)
	v_mul_f64 v[22:23], v[16:17], v[20:21]
	v_fma_f64 v[22:23], v[14:15], v[18:19], -v[22:23]
	v_mul_f64 v[14:15], v[14:15], v[20:21]
	v_fma_f64 v[24:25], v[16:17], v[18:19], v[14:15]
	global_load_dwordx4 v[18:21], v[10:11], off offset:3136
	ds_read_b128 v[14:17], v196 offset:3136
	ds_write_b128 v196, v[22:25] offset:35280
	s_waitcnt vmcnt(0) lgkmcnt(1)
	v_mul_f64 v[22:23], v[16:17], v[20:21]
	v_fma_f64 v[22:23], v[14:15], v[18:19], -v[22:23]
	v_mul_f64 v[14:15], v[14:15], v[20:21]
	v_fma_f64 v[24:25], v[16:17], v[18:19], v[14:15]
	global_load_dwordx4 v[18:21], v[26:27], off offset:1984
	ds_read_b128 v[14:17], v196 offset:8624
	ds_write_b128 v196, v[22:25] offset:3136
	s_waitcnt vmcnt(0) lgkmcnt(1)
	v_mul_f64 v[22:23], v[16:17], v[20:21]
	v_fma_f64 v[22:23], v[14:15], v[18:19], -v[22:23]
	v_mul_f64 v[14:15], v[14:15], v[20:21]
	v_fma_f64 v[24:25], v[16:17], v[18:19], v[14:15]
	global_load_dwordx4 v[18:21], v[4:5], off offset:3376
	ds_read_b128 v[14:17], v196 offset:14112
	ds_write_b128 v196, v[22:25] offset:8624
	s_waitcnt vmcnt(0) lgkmcnt(1)
	v_mul_f64 v[4:5], v[16:17], v[20:21]
	v_fma_f64 v[22:23], v[14:15], v[18:19], -v[4:5]
	v_mul_f64 v[4:5], v[14:15], v[20:21]
	v_fma_f64 v[24:25], v[16:17], v[18:19], v[4:5]
	global_load_dwordx4 v[18:21], v[6:7], off offset:672
	ds_read_b128 v[14:17], v196 offset:19600
	ds_write_b128 v196, v[22:25] offset:14112
	s_waitcnt vmcnt(0) lgkmcnt(1)
	v_mul_f64 v[4:5], v[16:17], v[20:21]
	v_fma_f64 v[22:23], v[14:15], v[18:19], -v[4:5]
	v_mul_f64 v[4:5], v[14:15], v[20:21]
	v_fma_f64 v[24:25], v[16:17], v[18:19], v[4:5]
	global_load_dwordx4 v[18:21], v[28:29], off offset:2064
	ds_read_b128 v[14:17], v196 offset:25088
	ds_write_b128 v196, v[22:25] offset:19600
	s_waitcnt vmcnt(0) lgkmcnt(1)
	v_mul_f64 v[4:5], v[16:17], v[20:21]
	v_fma_f64 v[22:23], v[14:15], v[18:19], -v[4:5]
	v_mul_f64 v[4:5], v[14:15], v[20:21]
	v_fma_f64 v[24:25], v[16:17], v[18:19], v[4:5]
	global_load_dwordx4 v[18:21], v[12:13], off offset:3456
	ds_read_b128 v[14:17], v196 offset:30576
	ds_write_b128 v196, v[22:25] offset:25088
	s_waitcnt vmcnt(0) lgkmcnt(1)
	v_mul_f64 v[4:5], v[16:17], v[20:21]
	v_fma_f64 v[12:13], v[14:15], v[18:19], -v[4:5]
	v_mul_f64 v[4:5], v[14:15], v[20:21]
	v_fma_f64 v[14:15], v[16:17], v[18:19], v[4:5]
	v_add_co_u32_e32 v4, vcc, s3, v30
	v_addc_co_u32_e32 v5, vcc, 0, v31, vcc
	global_load_dwordx4 v[16:19], v[4:5], off offset:752
	s_mov_b32 s3, 0xbfdc38aa
	ds_write_b128 v196, v[12:15] offset:30576
	ds_read_b128 v[12:15], v196 offset:36064
	s_waitcnt vmcnt(0) lgkmcnt(0)
	v_mul_f64 v[20:21], v[14:15], v[18:19]
	v_fma_f64 v[20:21], v[12:13], v[16:17], -v[20:21]
	v_mul_f64 v[12:13], v[12:13], v[18:19]
	v_fma_f64 v[22:23], v[14:15], v[16:17], v[12:13]
	global_load_dwordx4 v[16:19], v[10:11], off offset:3920
	ds_read_b128 v[12:15], v196 offset:3920
	ds_write_b128 v196, v[20:23] offset:36064
	s_waitcnt vmcnt(0) lgkmcnt(1)
	v_mul_f64 v[10:11], v[14:15], v[18:19]
	v_fma_f64 v[10:11], v[12:13], v[16:17], -v[10:11]
	v_mul_f64 v[12:13], v[12:13], v[18:19]
	v_fma_f64 v[12:13], v[14:15], v[16:17], v[12:13]
	global_load_dwordx4 v[14:17], v[26:27], off offset:2768
	ds_write_b128 v196, v[10:13] offset:3920
	ds_read_b128 v[10:13], v196 offset:9408
	s_waitcnt vmcnt(0) lgkmcnt(0)
	v_mul_f64 v[18:19], v[12:13], v[16:17]
	v_fma_f64 v[18:19], v[10:11], v[14:15], -v[18:19]
	v_mul_f64 v[10:11], v[10:11], v[16:17]
	v_fma_f64 v[20:21], v[12:13], v[14:15], v[10:11]
	global_load_dwordx4 v[14:17], v[2:3], off offset:64
	ds_read_b128 v[10:13], v196 offset:14896
	ds_write_b128 v196, v[18:21] offset:9408
	s_waitcnt vmcnt(0) lgkmcnt(1)
	v_mul_f64 v[18:19], v[12:13], v[16:17]
	v_fma_f64 v[18:19], v[10:11], v[14:15], -v[18:19]
	v_mul_f64 v[10:11], v[10:11], v[16:17]
	v_fma_f64 v[20:21], v[12:13], v[14:15], v[10:11]
	global_load_dwordx4 v[14:17], v[6:7], off offset:1456
	ds_read_b128 v[10:13], v196 offset:20384
	ds_write_b128 v196, v[18:21] offset:14896
	;; [unrolled: 8-line block ×8, first 2 shown]
	s_waitcnt vmcnt(0) lgkmcnt(1)
	v_mul_f64 v[14:15], v[12:13], v[2:3]
	v_mul_f64 v[2:3], v[10:11], v[2:3]
	v_fma_f64 v[14:15], v[10:11], v[0:1], -v[14:15]
	v_fma_f64 v[16:17], v[12:13], v[0:1], v[2:3]
	global_load_dwordx4 v[10:13], v[6:7], off offset:2240
	ds_read_b128 v[0:3], v196 offset:21168
	ds_write_b128 v196, v[14:17] offset:15680
	s_waitcnt vmcnt(0) lgkmcnt(1)
	v_mul_f64 v[6:7], v[2:3], v[12:13]
	v_fma_f64 v[14:15], v[0:1], v[10:11], -v[6:7]
	v_mul_f64 v[0:1], v[0:1], v[12:13]
	v_fma_f64 v[16:17], v[2:3], v[10:11], v[0:1]
	global_load_dwordx4 v[10:13], v[28:29], off offset:3632
	ds_read_b128 v[0:3], v196 offset:26656
	ds_write_b128 v196, v[14:17] offset:21168
	s_waitcnt vmcnt(0) lgkmcnt(1)
	v_mul_f64 v[6:7], v[2:3], v[12:13]
	v_fma_f64 v[14:15], v[0:1], v[10:11], -v[6:7]
	global_load_dwordx4 v[6:9], v[8:9], off offset:928
	v_mul_f64 v[0:1], v[0:1], v[12:13]
	v_fma_f64 v[16:17], v[2:3], v[10:11], v[0:1]
	ds_read_b128 v[0:3], v196 offset:32144
	ds_write_b128 v196, v[14:17] offset:26656
	s_waitcnt vmcnt(0) lgkmcnt(1)
	v_mul_f64 v[10:11], v[2:3], v[8:9]
	v_fma_f64 v[10:11], v[0:1], v[6:7], -v[10:11]
	v_mul_f64 v[0:1], v[0:1], v[8:9]
	v_fma_f64 v[12:13], v[2:3], v[6:7], v[0:1]
	global_load_dwordx4 v[4:7], v[4:5], off offset:2320
	ds_read_b128 v[0:3], v196 offset:37632
	ds_write_b128 v196, v[10:13] offset:32144
	s_waitcnt vmcnt(0) lgkmcnt(1)
	v_mul_f64 v[8:9], v[2:3], v[6:7]
	v_fma_f64 v[8:9], v[0:1], v[4:5], -v[8:9]
	v_mul_f64 v[0:1], v[0:1], v[6:7]
	v_fma_f64 v[10:11], v[2:3], v[4:5], v[0:1]
	ds_write_b128 v196, v[8:11] offset:37632
	s_waitcnt lgkmcnt(0)
	; wave barrier
	s_waitcnt lgkmcnt(0)
	ds_read_b128 v[28:31], v196
	ds_read_b128 v[188:191], v196 offset:5488
	ds_read_b128 v[180:183], v196 offset:10976
	;; [unrolled: 1-line block ×48, first 2 shown]
	s_waitcnt lgkmcnt(14)
	v_add_f64 v[197:198], v[188:189], v[192:193]
	v_add_f64 v[199:200], v[190:191], v[194:195]
	v_add_f64 v[188:189], v[188:189], -v[192:193]
	v_add_f64 v[190:191], v[190:191], -v[194:195]
	v_add_f64 v[192:193], v[180:181], v[184:185]
	v_add_f64 v[194:195], v[182:183], v[186:187]
	v_add_f64 v[180:181], v[180:181], -v[184:185]
	v_add_f64 v[182:183], v[182:183], -v[186:187]
	;; [unrolled: 4-line block ×4, first 2 shown]
	v_add_f64 v[197:198], v[197:198], -v[184:185]
	v_add_f64 v[199:200], v[199:200], -v[186:187]
	;; [unrolled: 1-line block ×4, first 2 shown]
	v_add_f64 v[205:206], v[152:153], v[180:181]
	v_add_f64 v[207:208], v[154:155], v[182:183]
	v_add_f64 v[209:210], v[152:153], -v[180:181]
	v_add_f64 v[211:212], v[154:155], -v[182:183]
	v_add_f64 v[164:165], v[184:185], v[164:165]
	v_add_f64 v[166:167], v[186:187], v[166:167]
	v_add_f64 v[152:153], v[188:189], -v[152:153]
	v_add_f64 v[154:155], v[190:191], -v[154:155]
	;; [unrolled: 1-line block ×4, first 2 shown]
	v_add_f64 v[184:185], v[205:206], v[188:189]
	v_add_f64 v[186:187], v[207:208], v[190:191]
	;; [unrolled: 1-line block ×4, first 2 shown]
	v_mul_f64 v[188:189], v[197:198], s[26:27]
	v_mul_f64 v[190:191], v[199:200], s[26:27]
	;; [unrolled: 1-line block ×8, first 2 shown]
	v_fma_f64 v[164:165], v[164:165], s[18:19], v[28:29]
	v_fma_f64 v[166:167], v[166:167], s[18:19], v[30:31]
	v_fma_f64 v[197:198], v[201:202], s[14:15], -v[197:198]
	v_fma_f64 v[199:200], v[203:204], s[14:15], -v[199:200]
	;; [unrolled: 1-line block ×4, first 2 shown]
	v_fma_f64 v[192:193], v[192:193], s[6:7], v[188:189]
	v_fma_f64 v[194:195], v[194:195], s[6:7], v[190:191]
	v_fma_f64 v[188:189], v[201:202], s[16:17], -v[188:189]
	v_fma_f64 v[190:191], v[203:204], s[16:17], -v[190:191]
	v_fma_f64 v[201:202], v[152:153], s[22:23], v[205:206]
	v_fma_f64 v[203:204], v[154:155], s[22:23], v[207:208]
	;; [unrolled: 1-line block ×4, first 2 shown]
	v_add_f64 v[197:198], v[197:198], v[164:165]
	v_add_f64 v[199:200], v[199:200], v[166:167]
	v_fma_f64 v[205:206], v[184:185], s[2:3], v[180:181]
	v_fma_f64 v[207:208], v[186:187], s[2:3], v[182:183]
	;; [unrolled: 1-line block ×6, first 2 shown]
	v_add_f64 v[192:193], v[192:193], v[164:165]
	v_add_f64 v[194:195], v[194:195], v[166:167]
	;; [unrolled: 1-line block ×3, first 2 shown]
	v_add_f64 v[180:181], v[197:198], -v[207:208]
	v_add_f64 v[184:185], v[197:198], v[207:208]
	v_add_f64 v[186:187], v[199:200], -v[205:206]
	v_add_f64 v[197:198], v[136:137], v[148:149]
	v_add_f64 v[199:200], v[138:139], v[150:151]
	v_add_f64 v[136:137], v[136:137], -v[148:149]
	v_add_f64 v[138:139], v[138:139], -v[150:151]
	v_add_f64 v[148:149], v[108:109], v[112:113]
	v_add_f64 v[150:151], v[110:111], v[114:115]
	;; [unrolled: 1-line block ×4, first 2 shown]
	v_add_f64 v[108:109], v[108:109], -v[112:113]
	v_add_f64 v[110:111], v[110:111], -v[114:115]
	v_add_f64 v[112:113], v[100:101], v[104:105]
	v_add_f64 v[114:115], v[102:103], v[106:107]
	v_add_f64 v[100:101], v[104:105], -v[100:101]
	v_add_f64 v[102:103], v[106:107], -v[102:103]
	v_add_f64 v[104:105], v[148:149], v[197:198]
	v_add_f64 v[106:107], v[150:151], v[199:200]
	;; [unrolled: 1-line block ×3, first 2 shown]
	v_add_f64 v[154:155], v[194:195], -v[201:202]
	v_add_f64 v[164:165], v[188:189], v[211:212]
	v_add_f64 v[166:167], v[190:191], -v[209:210]
	v_add_f64 v[188:189], v[188:189], -v[211:212]
	v_add_f64 v[190:191], v[209:210], v[190:191]
	v_add_f64 v[192:193], v[192:193], -v[203:204]
	v_add_f64 v[194:195], v[201:202], v[194:195]
	v_add_f64 v[201:202], v[148:149], -v[197:198]
	v_add_f64 v[203:204], v[150:151], -v[199:200]
	;; [unrolled: 1-line block ×6, first 2 shown]
	v_add_f64 v[205:206], v[100:101], v[108:109]
	v_add_f64 v[207:208], v[102:103], v[110:111]
	v_add_f64 v[209:210], v[100:101], -v[108:109]
	v_add_f64 v[211:212], v[102:103], -v[110:111]
	v_add_f64 v[104:105], v[112:113], v[104:105]
	v_add_f64 v[106:107], v[114:115], v[106:107]
	v_add_f64 v[100:101], v[136:137], -v[100:101]
	v_add_f64 v[102:103], v[138:139], -v[102:103]
	;; [unrolled: 1-line block ×4, first 2 shown]
	v_add_f64 v[112:113], v[205:206], v[136:137]
	v_add_f64 v[114:115], v[207:208], v[138:139]
	;; [unrolled: 1-line block ×4, first 2 shown]
	v_mul_f64 v[136:137], v[197:198], s[26:27]
	v_mul_f64 v[138:139], v[199:200], s[26:27]
	;; [unrolled: 1-line block ×8, first 2 shown]
	v_fma_f64 v[104:105], v[104:105], s[18:19], v[64:65]
	v_fma_f64 v[106:107], v[106:107], s[18:19], v[66:67]
	v_fma_f64 v[197:198], v[201:202], s[14:15], -v[197:198]
	v_fma_f64 v[199:200], v[203:204], s[14:15], -v[199:200]
	;; [unrolled: 1-line block ×4, first 2 shown]
	v_fma_f64 v[148:149], v[148:149], s[6:7], v[136:137]
	v_fma_f64 v[150:151], v[150:151], s[6:7], v[138:139]
	v_fma_f64 v[136:137], v[201:202], s[16:17], -v[136:137]
	v_fma_f64 v[138:139], v[203:204], s[16:17], -v[138:139]
	v_fma_f64 v[201:202], v[100:101], s[22:23], v[205:206]
	v_add_f64 v[197:198], v[197:198], v[104:105]
	v_add_f64 v[199:200], v[199:200], v[106:107]
	v_fma_f64 v[205:206], v[112:113], s[2:3], v[108:109]
	v_fma_f64 v[108:109], v[114:115], s[2:3], v[110:111]
	;; [unrolled: 1-line block ×5, first 2 shown]
	v_add_f64 v[148:149], v[148:149], v[104:105]
	v_add_f64 v[150:151], v[150:151], v[106:107]
	v_add_f64 v[136:137], v[136:137], v[104:105]
	v_add_f64 v[138:139], v[138:139], v[106:107]
	v_add_f64 v[104:105], v[197:198], -v[108:109]
	v_add_f64 v[106:107], v[205:206], v[199:200]
	v_add_f64 v[108:109], v[197:198], v[108:109]
	v_add_f64 v[110:111], v[199:200], -v[205:206]
	v_add_f64 v[197:198], v[160:161], v[168:169]
	v_add_f64 v[199:200], v[162:163], v[170:171]
	v_add_f64 v[160:161], v[160:161], -v[168:169]
	v_add_f64 v[162:163], v[162:163], -v[170:171]
	v_add_f64 v[168:169], v[96:97], v[144:145]
	v_add_f64 v[170:171], v[98:99], v[146:147]
	v_fma_f64 v[201:202], v[112:113], s[2:3], v[201:202]
	v_fma_f64 v[203:204], v[114:115], s[2:3], v[203:204]
	;; [unrolled: 1-line block ×4, first 2 shown]
	v_add_f64 v[96:97], v[96:97], -v[144:145]
	v_add_f64 v[98:99], v[98:99], -v[146:147]
	v_add_f64 v[144:145], v[88:89], v[92:93]
	v_add_f64 v[146:147], v[90:91], v[94:95]
	v_add_f64 v[88:89], v[92:93], -v[88:89]
	v_add_f64 v[90:91], v[94:95], -v[90:91]
	v_add_f64 v[92:93], v[168:169], v[197:198]
	v_add_f64 v[94:95], v[170:171], v[199:200]
	;; [unrolled: 1-line block ×3, first 2 shown]
	v_add_f64 v[114:115], v[150:151], -v[201:202]
	v_add_f64 v[100:101], v[136:137], v[209:210]
	v_add_f64 v[102:103], v[138:139], -v[207:208]
	v_add_f64 v[136:137], v[136:137], -v[209:210]
	v_add_f64 v[138:139], v[207:208], v[138:139]
	v_add_f64 v[148:149], v[148:149], -v[203:204]
	v_add_f64 v[150:151], v[201:202], v[150:151]
	v_add_f64 v[201:202], v[168:169], -v[197:198]
	v_add_f64 v[203:204], v[170:171], -v[199:200]
	;; [unrolled: 1-line block ×6, first 2 shown]
	v_add_f64 v[205:206], v[88:89], v[96:97]
	v_add_f64 v[207:208], v[90:91], v[98:99]
	v_add_f64 v[209:210], v[88:89], -v[96:97]
	v_add_f64 v[211:212], v[90:91], -v[98:99]
	;; [unrolled: 1-line block ×4, first 2 shown]
	v_add_f64 v[92:93], v[144:145], v[92:93]
	v_add_f64 v[94:95], v[146:147], v[94:95]
	v_add_f64 v[88:89], v[160:161], -v[88:89]
	v_add_f64 v[90:91], v[162:163], -v[90:91]
	v_add_f64 v[160:161], v[205:206], v[160:161]
	v_add_f64 v[162:163], v[207:208], v[162:163]
	v_mul_f64 v[205:206], v[209:210], s[20:21]
	v_mul_f64 v[207:208], v[211:212], s[20:21]
	v_add_f64 v[144:145], v[84:85], v[92:93]
	v_add_f64 v[146:147], v[86:87], v[94:95]
	v_mul_f64 v[84:85], v[197:198], s[26:27]
	v_mul_f64 v[86:87], v[199:200], s[26:27]
	;; [unrolled: 1-line block ×6, first 2 shown]
	v_fma_f64 v[92:93], v[92:93], s[18:19], v[144:145]
	v_fma_f64 v[94:95], v[94:95], s[18:19], v[146:147]
	;; [unrolled: 1-line block ×4, first 2 shown]
	v_fma_f64 v[197:198], v[201:202], s[14:15], -v[197:198]
	v_fma_f64 v[199:200], v[203:204], s[14:15], -v[199:200]
	;; [unrolled: 1-line block ×4, first 2 shown]
	v_fma_f64 v[201:202], v[88:89], s[22:23], v[205:206]
	v_fma_f64 v[203:204], v[90:91], s[22:23], v[207:208]
	v_fma_f64 v[96:97], v[96:97], s[4:5], -v[205:206]
	v_fma_f64 v[98:99], v[98:99], s[4:5], -v[207:208]
	v_fma_f64 v[88:89], v[88:89], s[8:9], v[209:210]
	v_fma_f64 v[90:91], v[90:91], s[8:9], v[211:212]
	v_add_f64 v[205:206], v[168:169], v[92:93]
	v_add_f64 v[207:208], v[170:171], v[94:95]
	;; [unrolled: 1-line block ×6, first 2 shown]
	v_fma_f64 v[201:202], v[160:161], s[2:3], v[201:202]
	v_fma_f64 v[203:204], v[162:163], s[2:3], v[203:204]
	;; [unrolled: 1-line block ×6, first 2 shown]
	s_waitcnt lgkmcnt(0)
	; wave barrier
	s_waitcnt lgkmcnt(0)
	v_add_f64 v[86:87], v[207:208], -v[201:202]
	v_add_f64 v[84:85], v[205:206], v[203:204]
	v_add_f64 v[94:95], v[209:210], v[170:171]
	v_add_f64 v[92:93], v[168:169], -v[96:97]
	v_add_f64 v[90:91], v[199:200], -v[160:161]
	v_add_f64 v[88:89], v[197:198], v[162:163]
	v_add_f64 v[96:97], v[168:169], v[96:97]
	v_add_f64 v[98:99], v[170:171], -v[209:210]
	v_add_f64 v[168:169], v[197:198], -v[162:163]
	v_add_f64 v[170:171], v[160:161], v[199:200]
	v_add_f64 v[197:198], v[172:173], v[176:177]
	;; [unrolled: 1-line block ×3, first 2 shown]
	v_add_f64 v[172:173], v[172:173], -v[176:177]
	v_add_f64 v[174:175], v[174:175], -v[178:179]
	v_add_f64 v[176:177], v[76:77], v[80:81]
	v_add_f64 v[178:179], v[78:79], v[82:83]
	v_add_f64 v[76:77], v[76:77], -v[80:81]
	v_add_f64 v[78:79], v[78:79], -v[82:83]
	v_add_f64 v[80:81], v[68:69], v[72:73]
	v_add_f64 v[82:83], v[70:71], v[74:75]
	;; [unrolled: 4-line block ×3, first 2 shown]
	v_add_f64 v[160:161], v[205:206], -v[203:204]
	v_add_f64 v[162:163], v[201:202], v[207:208]
	v_add_f64 v[201:202], v[176:177], -v[197:198]
	v_add_f64 v[203:204], v[178:179], -v[199:200]
	;; [unrolled: 1-line block ×6, first 2 shown]
	v_add_f64 v[205:206], v[68:69], v[76:77]
	v_add_f64 v[207:208], v[70:71], v[78:79]
	v_add_f64 v[209:210], v[68:69], -v[76:77]
	v_add_f64 v[211:212], v[70:71], -v[78:79]
	v_add_f64 v[72:73], v[80:81], v[72:73]
	v_add_f64 v[74:75], v[82:83], v[74:75]
	v_add_f64 v[68:69], v[172:173], -v[68:69]
	v_add_f64 v[70:71], v[174:175], -v[70:71]
	;; [unrolled: 1-line block ×4, first 2 shown]
	v_add_f64 v[80:81], v[205:206], v[172:173]
	v_add_f64 v[82:83], v[207:208], v[174:175]
	;; [unrolled: 1-line block ×4, first 2 shown]
	v_mul_f64 v[60:61], v[197:198], s[26:27]
	v_mul_f64 v[62:63], v[199:200], s[26:27]
	;; [unrolled: 1-line block ×8, first 2 shown]
	v_fma_f64 v[72:73], v[72:73], s[18:19], v[172:173]
	v_fma_f64 v[74:75], v[74:75], s[18:19], v[174:175]
	v_fma_f64 v[197:198], v[201:202], s[14:15], -v[197:198]
	v_fma_f64 v[199:200], v[203:204], s[14:15], -v[199:200]
	;; [unrolled: 1-line block ×4, first 2 shown]
	v_fma_f64 v[176:177], v[176:177], s[6:7], v[60:61]
	v_fma_f64 v[178:179], v[178:179], s[6:7], v[62:63]
	v_fma_f64 v[60:61], v[201:202], s[16:17], -v[60:61]
	v_fma_f64 v[62:63], v[203:204], s[16:17], -v[62:63]
	v_fma_f64 v[201:202], v[68:69], s[22:23], v[205:206]
	v_fma_f64 v[68:69], v[68:69], s[8:9], v[209:210]
	v_add_f64 v[197:198], v[197:198], v[72:73]
	v_add_f64 v[199:200], v[199:200], v[74:75]
	v_fma_f64 v[209:210], v[80:81], s[2:3], v[76:77]
	v_fma_f64 v[76:77], v[82:83], s[2:3], v[78:79]
	v_fma_f64 v[203:204], v[70:71], s[22:23], v[207:208]
	v_fma_f64 v[70:71], v[70:71], s[8:9], v[211:212]
	v_add_f64 v[176:177], v[176:177], v[72:73]
	v_add_f64 v[178:179], v[178:179], v[74:75]
	;; [unrolled: 1-line block ×5, first 2 shown]
	v_add_f64 v[72:73], v[197:198], -v[76:77]
	v_add_f64 v[76:77], v[197:198], v[76:77]
	v_add_f64 v[78:79], v[199:200], -v[209:210]
	v_add_f64 v[197:198], v[52:53], v[56:57]
	v_add_f64 v[199:200], v[54:55], v[58:59]
	v_add_f64 v[52:53], v[52:53], -v[56:57]
	v_add_f64 v[54:55], v[54:55], -v[58:59]
	v_add_f64 v[56:57], v[44:45], v[48:49]
	v_add_f64 v[58:59], v[46:47], v[50:51]
	v_fma_f64 v[201:202], v[80:81], s[2:3], v[201:202]
	v_fma_f64 v[203:204], v[82:83], s[2:3], v[203:204]
	;; [unrolled: 1-line block ×4, first 2 shown]
	v_add_f64 v[44:45], v[44:45], -v[48:49]
	v_add_f64 v[46:47], v[46:47], -v[50:51]
	v_add_f64 v[48:49], v[36:37], v[40:41]
	v_add_f64 v[50:51], v[38:39], v[42:43]
	v_add_f64 v[36:37], v[40:41], -v[36:37]
	v_add_f64 v[38:39], v[42:43], -v[38:39]
	v_add_f64 v[40:41], v[56:57], v[197:198]
	v_add_f64 v[42:43], v[58:59], v[199:200]
	;; [unrolled: 1-line block ×3, first 2 shown]
	v_add_f64 v[62:63], v[178:179], -v[201:202]
	v_add_f64 v[68:69], v[205:206], v[80:81]
	v_add_f64 v[70:71], v[207:208], -v[211:212]
	v_add_f64 v[80:81], v[205:206], -v[80:81]
	v_add_f64 v[82:83], v[211:212], v[207:208]
	v_add_f64 v[176:177], v[176:177], -v[203:204]
	v_add_f64 v[178:179], v[201:202], v[178:179]
	v_add_f64 v[201:202], v[56:57], -v[197:198]
	v_add_f64 v[203:204], v[58:59], -v[199:200]
	;; [unrolled: 1-line block ×6, first 2 shown]
	v_add_f64 v[205:206], v[36:37], v[44:45]
	v_add_f64 v[207:208], v[38:39], v[46:47]
	v_add_f64 v[209:210], v[36:37], -v[44:45]
	v_add_f64 v[211:212], v[38:39], -v[46:47]
	v_add_f64 v[40:41], v[48:49], v[40:41]
	v_add_f64 v[42:43], v[50:51], v[42:43]
	v_add_f64 v[36:37], v[52:53], -v[36:37]
	v_add_f64 v[38:39], v[54:55], -v[38:39]
	;; [unrolled: 1-line block ×4, first 2 shown]
	v_add_f64 v[48:49], v[205:206], v[52:53]
	v_add_f64 v[50:51], v[207:208], v[54:55]
	;; [unrolled: 1-line block ×4, first 2 shown]
	v_mul_f64 v[52:53], v[197:198], s[26:27]
	v_mul_f64 v[54:55], v[199:200], s[26:27]
	;; [unrolled: 1-line block ×8, first 2 shown]
	v_fma_f64 v[40:41], v[40:41], s[18:19], v[0:1]
	v_fma_f64 v[42:43], v[42:43], s[18:19], v[2:3]
	v_fma_f64 v[197:198], v[201:202], s[14:15], -v[197:198]
	v_fma_f64 v[199:200], v[203:204], s[14:15], -v[199:200]
	;; [unrolled: 1-line block ×4, first 2 shown]
	v_fma_f64 v[56:57], v[56:57], s[6:7], v[52:53]
	v_fma_f64 v[58:59], v[58:59], s[6:7], v[54:55]
	v_fma_f64 v[52:53], v[201:202], s[16:17], -v[52:53]
	v_fma_f64 v[54:55], v[203:204], s[16:17], -v[54:55]
	v_fma_f64 v[201:202], v[36:37], s[22:23], v[205:206]
	v_fma_f64 v[203:204], v[38:39], s[22:23], v[207:208]
	;; [unrolled: 1-line block ×4, first 2 shown]
	v_add_f64 v[197:198], v[197:198], v[40:41]
	v_add_f64 v[199:200], v[199:200], v[42:43]
	v_fma_f64 v[205:206], v[48:49], s[2:3], v[44:45]
	v_fma_f64 v[207:208], v[50:51], s[2:3], v[46:47]
	;; [unrolled: 1-line block ×6, first 2 shown]
	v_add_f64 v[56:57], v[56:57], v[40:41]
	v_add_f64 v[58:59], v[58:59], v[42:43]
	;; [unrolled: 1-line block ×3, first 2 shown]
	v_add_f64 v[44:45], v[197:198], -v[207:208]
	v_add_f64 v[48:49], v[197:198], v[207:208]
	v_add_f64 v[50:51], v[199:200], -v[205:206]
	v_add_f64 v[197:198], v[140:141], v[156:157]
	v_add_f64 v[199:200], v[142:143], v[158:159]
	v_add_f64 v[140:141], v[140:141], -v[156:157]
	v_add_f64 v[142:143], v[142:143], -v[158:159]
	v_add_f64 v[156:157], v[128:129], v[132:133]
	v_add_f64 v[158:159], v[130:131], v[134:135]
	v_add_f64 v[52:53], v[52:53], v[40:41]
	v_add_f64 v[54:55], v[54:55], v[42:43]
	v_add_f64 v[128:129], v[128:129], -v[132:133]
	v_add_f64 v[130:131], v[130:131], -v[134:135]
	v_add_f64 v[132:133], v[120:121], v[124:125]
	v_add_f64 v[134:135], v[122:123], v[126:127]
	v_add_f64 v[120:121], v[124:125], -v[120:121]
	v_add_f64 v[122:123], v[126:127], -v[122:123]
	v_add_f64 v[124:125], v[156:157], v[197:198]
	v_add_f64 v[126:127], v[158:159], v[199:200]
	;; [unrolled: 1-line block ×3, first 2 shown]
	v_add_f64 v[38:39], v[58:59], -v[201:202]
	v_add_f64 v[40:41], v[52:53], v[211:212]
	v_add_f64 v[42:43], v[54:55], -v[209:210]
	v_add_f64 v[52:53], v[52:53], -v[211:212]
	v_add_f64 v[54:55], v[209:210], v[54:55]
	v_add_f64 v[56:57], v[56:57], -v[203:204]
	v_add_f64 v[58:59], v[201:202], v[58:59]
	v_add_f64 v[201:202], v[156:157], -v[197:198]
	v_add_f64 v[203:204], v[158:159], -v[199:200]
	;; [unrolled: 1-line block ×6, first 2 shown]
	v_add_f64 v[205:206], v[120:121], v[128:129]
	v_add_f64 v[207:208], v[122:123], v[130:131]
	v_add_f64 v[209:210], v[120:121], -v[128:129]
	v_add_f64 v[211:212], v[122:123], -v[130:131]
	v_add_f64 v[124:125], v[132:133], v[124:125]
	v_add_f64 v[126:127], v[134:135], v[126:127]
	v_add_f64 v[120:121], v[140:141], -v[120:121]
	v_add_f64 v[122:123], v[142:143], -v[122:123]
	;; [unrolled: 1-line block ×4, first 2 shown]
	v_add_f64 v[132:133], v[205:206], v[140:141]
	v_add_f64 v[134:135], v[207:208], v[142:143]
	;; [unrolled: 1-line block ×4, first 2 shown]
	v_mul_f64 v[140:141], v[197:198], s[26:27]
	v_mul_f64 v[142:143], v[199:200], s[26:27]
	;; [unrolled: 1-line block ×8, first 2 shown]
	v_fma_f64 v[124:125], v[124:125], s[18:19], v[116:117]
	v_fma_f64 v[126:127], v[126:127], s[18:19], v[118:119]
	v_fma_f64 v[197:198], v[201:202], s[14:15], -v[197:198]
	v_fma_f64 v[199:200], v[203:204], s[14:15], -v[199:200]
	;; [unrolled: 1-line block ×4, first 2 shown]
	v_fma_f64 v[156:157], v[156:157], s[6:7], v[140:141]
	v_fma_f64 v[158:159], v[158:159], s[6:7], v[142:143]
	v_fma_f64 v[140:141], v[201:202], s[16:17], -v[140:141]
	v_fma_f64 v[142:143], v[203:204], s[16:17], -v[142:143]
	v_fma_f64 v[201:202], v[120:121], s[22:23], v[205:206]
	v_fma_f64 v[203:204], v[122:123], s[22:23], v[207:208]
	;; [unrolled: 1-line block ×4, first 2 shown]
	v_add_f64 v[197:198], v[197:198], v[124:125]
	v_add_f64 v[199:200], v[199:200], v[126:127]
	v_fma_f64 v[209:210], v[132:133], s[2:3], v[128:129]
	v_fma_f64 v[128:129], v[134:135], s[2:3], v[130:131]
	;; [unrolled: 1-line block ×6, first 2 shown]
	v_add_f64 v[205:206], v[156:157], v[124:125]
	v_add_f64 v[207:208], v[158:159], v[126:127]
	;; [unrolled: 1-line block ×3, first 2 shown]
	v_add_f64 v[132:133], v[197:198], -v[128:129]
	v_add_f64 v[128:129], v[197:198], v[128:129]
	v_add_f64 v[130:131], v[199:200], -v[209:210]
	v_add_f64 v[197:198], v[20:21], v[24:25]
	v_add_f64 v[199:200], v[22:23], v[26:27]
	v_add_f64 v[20:21], v[20:21], -v[24:25]
	v_add_f64 v[22:23], v[22:23], -v[26:27]
	v_add_f64 v[24:25], v[12:13], v[16:17]
	v_add_f64 v[26:27], v[14:15], v[18:19]
	;; [unrolled: 1-line block ×4, first 2 shown]
	v_add_f64 v[12:13], v[12:13], -v[16:17]
	v_add_f64 v[14:15], v[14:15], -v[18:19]
	v_add_f64 v[16:17], v[4:5], v[8:9]
	v_add_f64 v[18:19], v[6:7], v[10:11]
	v_add_f64 v[4:5], v[8:9], -v[4:5]
	v_add_f64 v[6:7], v[10:11], -v[6:7]
	v_add_f64 v[8:9], v[24:25], v[197:198]
	v_add_f64 v[10:11], v[26:27], v[199:200]
	;; [unrolled: 1-line block ×3, first 2 shown]
	v_add_f64 v[158:159], v[207:208], -v[201:202]
	v_add_f64 v[140:141], v[124:125], v[122:123]
	v_add_f64 v[142:143], v[126:127], -v[120:121]
	v_add_f64 v[124:125], v[124:125], -v[122:123]
	v_add_f64 v[126:127], v[120:121], v[126:127]
	v_add_f64 v[120:121], v[205:206], -v[203:204]
	v_add_f64 v[122:123], v[201:202], v[207:208]
	v_add_f64 v[201:202], v[24:25], -v[197:198]
	v_add_f64 v[203:204], v[26:27], -v[199:200]
	;; [unrolled: 1-line block ×6, first 2 shown]
	v_add_f64 v[205:206], v[4:5], v[12:13]
	v_add_f64 v[207:208], v[6:7], v[14:15]
	v_add_f64 v[209:210], v[4:5], -v[12:13]
	v_add_f64 v[211:212], v[6:7], -v[14:15]
	;; [unrolled: 1-line block ×3, first 2 shown]
	v_add_f64 v[8:9], v[16:17], v[8:9]
	v_add_f64 v[10:11], v[18:19], v[10:11]
	v_add_f64 v[213:214], v[20:21], -v[4:5]
	v_add_f64 v[215:216], v[22:23], -v[6:7]
	;; [unrolled: 1-line block ×3, first 2 shown]
	v_add_f64 v[16:17], v[205:206], v[20:21]
	v_add_f64 v[18:19], v[207:208], v[22:23]
	v_mul_f64 v[20:21], v[197:198], s[26:27]
	v_add_f64 v[4:5], v[32:33], v[8:9]
	v_add_f64 v[6:7], v[34:35], v[10:11]
	v_mul_f64 v[22:23], v[199:200], s[26:27]
	v_mul_f64 v[32:33], v[24:25], s[6:7]
	;; [unrolled: 1-line block ×7, first 2 shown]
	v_fma_f64 v[8:9], v[8:9], s[18:19], v[4:5]
	v_fma_f64 v[10:11], v[10:11], s[18:19], v[6:7]
	;; [unrolled: 1-line block ×4, first 2 shown]
	v_fma_f64 v[32:33], v[201:202], s[14:15], -v[32:33]
	v_fma_f64 v[34:35], v[203:204], s[14:15], -v[34:35]
	;; [unrolled: 1-line block ×4, first 2 shown]
	v_fma_f64 v[201:202], v[213:214], s[22:23], v[197:198]
	v_fma_f64 v[12:13], v[12:13], s[4:5], -v[197:198]
	v_fma_f64 v[14:15], v[14:15], s[4:5], -v[199:200]
	v_fma_f64 v[197:198], v[213:214], s[8:9], v[205:206]
	v_fma_f64 v[203:204], v[215:216], s[22:23], v[199:200]
	;; [unrolled: 1-line block ×3, first 2 shown]
	v_add_f64 v[207:208], v[26:27], v[10:11]
	v_add_f64 v[209:210], v[32:33], v[8:9]
	;; [unrolled: 1-line block ×4, first 2 shown]
	v_fma_f64 v[14:15], v[18:19], s[2:3], v[14:15]
	v_fma_f64 v[197:198], v[16:17], s[2:3], v[197:198]
	v_add_f64 v[205:206], v[24:25], v[8:9]
	v_add_f64 v[8:9], v[20:21], v[8:9]
	v_fma_f64 v[201:202], v[16:17], s[2:3], v[201:202]
	v_fma_f64 v[12:13], v[16:17], s[2:3], v[12:13]
	;; [unrolled: 1-line block ×4, first 2 shown]
	v_add_f64 v[20:21], v[209:210], -v[14:15]
	v_add_f64 v[26:27], v[10:11], -v[197:198]
	v_add_f64 v[16:17], v[209:210], v[14:15]
	v_add_f64 v[14:15], v[197:198], v[10:11]
	buffer_load_dword v197, off, s[40:43], 0 offset:2832 ; 4-byte Folded Reload
	s_waitcnt vmcnt(0)
	ds_write_b128 v197, v[28:31]
	ds_write_b128 v197, v[152:155] offset:16
	ds_write_b128 v197, v[164:167] offset:32
	ds_write_b128 v197, v[180:183] offset:48
	ds_write_b128 v197, v[184:187] offset:64
	ds_write_b128 v197, v[188:191] offset:80
	ds_write_b128 v197, v[192:195] offset:96
	buffer_load_dword v28, off, s[40:43], 0 offset:2788 ; 4-byte Folded Reload
	s_waitcnt vmcnt(0)
	ds_write_b128 v28, v[64:67]
	ds_write_b128 v28, v[112:115] offset:16
	ds_write_b128 v28, v[100:103] offset:32
	ds_write_b128 v28, v[104:107] offset:48
	ds_write_b128 v28, v[108:111] offset:64
	ds_write_b128 v28, v[136:139] offset:80
	ds_write_b128 v28, v[148:151] offset:96
	;; [unrolled: 9-line block ×6, first 2 shown]
	buffer_load_dword v0, off, s[40:43], 0 offset:796 ; 4-byte Folded Reload
	v_add_f64 v[32:33], v[205:206], v[203:204]
	v_add_f64 v[34:35], v[207:208], -v[201:202]
	v_add_f64 v[24:25], v[8:9], v[199:200]
	v_add_f64 v[22:23], v[12:13], v[211:212]
	v_add_f64 v[18:19], v[211:212], -v[12:13]
	v_add_f64 v[12:13], v[8:9], -v[199:200]
	;; [unrolled: 1-line block ×3, first 2 shown]
	v_add_f64 v[10:11], v[201:202], v[207:208]
	s_waitcnt vmcnt(0)
	ds_write_b128 v0, v[4:7]
	ds_write_b128 v0, v[32:35] offset:16
	ds_write_b128 v0, v[24:27] offset:32
	;; [unrolled: 1-line block ×6, first 2 shown]
	s_waitcnt lgkmcnt(0)
	; wave barrier
	s_waitcnt lgkmcnt(0)
	ds_read_b128 v[199:202], v196
	ds_read_b128 v[192:195], v196 offset:5488
	ds_read_b128 v[188:191], v196 offset:10976
	;; [unrolled: 1-line block ×28, first 2 shown]
	s_waitcnt lgkmcnt(0)
	buffer_store_dword v0, off, s[40:43], 0 offset:1724 ; 4-byte Folded Spill
	s_nop 0
	buffer_store_dword v1, off, s[40:43], 0 offset:1728 ; 4-byte Folded Spill
	buffer_store_dword v2, off, s[40:43], 0 offset:1732 ; 4-byte Folded Spill
	;; [unrolled: 1-line block ×3, first 2 shown]
	ds_read_b128 v[96:99], v196 offset:8624
	ds_read_b128 v[92:95], v196 offset:14112
	ds_read_b128 v[88:91], v196 offset:19600
	ds_read_b128 v[84:87], v196 offset:25088
	ds_read_b128 v[80:83], v196 offset:30576
	ds_read_b128 v[72:75], v196 offset:36064
	ds_read_b128 v[0:3], v196 offset:3920
	s_waitcnt lgkmcnt(0)
	buffer_store_dword v0, off, s[40:43], 0 offset:1284 ; 4-byte Folded Spill
	s_nop 0
	buffer_store_dword v1, off, s[40:43], 0 offset:1288 ; 4-byte Folded Spill
	buffer_store_dword v2, off, s[40:43], 0 offset:1292 ; 4-byte Folded Spill
	;; [unrolled: 1-line block ×3, first 2 shown]
	ds_read_b128 v[64:67], v196 offset:9408
	ds_read_b128 v[60:63], v196 offset:14896
	;; [unrolled: 1-line block ×7, first 2 shown]
	s_waitcnt lgkmcnt(0)
	buffer_store_dword v0, off, s[40:43], 0 offset:796 ; 4-byte Folded Spill
	s_nop 0
	buffer_store_dword v1, off, s[40:43], 0 offset:800 ; 4-byte Folded Spill
	buffer_store_dword v2, off, s[40:43], 0 offset:804 ; 4-byte Folded Spill
	buffer_store_dword v3, off, s[40:43], 0 offset:808 ; 4-byte Folded Spill
	ds_read_b128 v[40:43], v196 offset:10192
	ds_read_b128 v[36:39], v196 offset:15680
	;; [unrolled: 1-line block ×6, first 2 shown]
	buffer_load_dword v0, off, s[40:43], 0 offset:828 ; 4-byte Folded Reload
	buffer_load_dword v1, off, s[40:43], 0 offset:832 ; 4-byte Folded Reload
	buffer_load_dword v2, off, s[40:43], 0 offset:836 ; 4-byte Folded Reload
	buffer_load_dword v3, off, s[40:43], 0 offset:840 ; 4-byte Folded Reload
	s_waitcnt vmcnt(0)
	v_mul_f64 v[197:198], v[2:3], v[194:195]
	v_mul_f64 v[2:3], v[2:3], v[192:193]
	v_fma_f64 v[20:21], v[0:1], v[192:193], v[197:198]
	v_fma_f64 v[6:7], v[0:1], v[194:195], -v[2:3]
	buffer_load_dword v0, off, s[40:43], 0 offset:844 ; 4-byte Folded Reload
	buffer_load_dword v1, off, s[40:43], 0 offset:848 ; 4-byte Folded Reload
	buffer_load_dword v2, off, s[40:43], 0 offset:852 ; 4-byte Folded Reload
	buffer_load_dword v3, off, s[40:43], 0 offset:856 ; 4-byte Folded Reload
	s_waitcnt vmcnt(0)
	v_mul_f64 v[192:193], v[2:3], v[190:191]
	v_mul_f64 v[10:11], v[2:3], v[188:189]
	v_fma_f64 v[34:35], v[0:1], v[188:189], v[192:193]
	v_fma_f64 v[32:33], v[0:1], v[190:191], -v[10:11]
	buffer_load_dword v0, off, s[40:43], 0 offset:860 ; 4-byte Folded Reload
	buffer_load_dword v1, off, s[40:43], 0 offset:864 ; 4-byte Folded Reload
	buffer_load_dword v2, off, s[40:43], 0 offset:868 ; 4-byte Folded Reload
	buffer_load_dword v3, off, s[40:43], 0 offset:872 ; 4-byte Folded Reload
	s_waitcnt vmcnt(0)
	v_mul_f64 v[188:189], v[2:3], v[186:187]
	v_mul_f64 v[8:9], v[2:3], v[184:185]
	v_fma_f64 v[76:77], v[0:1], v[184:185], v[188:189]
	v_fma_f64 v[68:69], v[0:1], v[186:187], -v[8:9]
	buffer_load_dword v0, off, s[40:43], 0 offset:876 ; 4-byte Folded Reload
	buffer_load_dword v1, off, s[40:43], 0 offset:880 ; 4-byte Folded Reload
	buffer_load_dword v2, off, s[40:43], 0 offset:884 ; 4-byte Folded Reload
	buffer_load_dword v3, off, s[40:43], 0 offset:888 ; 4-byte Folded Reload
	s_waitcnt vmcnt(0)
	v_mul_f64 v[8:9], v[2:3], v[182:183]
	v_fma_f64 v[10:11], v[0:1], v[180:181], v[8:9]
	v_mul_f64 v[8:9], v[2:3], v[180:181]
	v_fma_f64 v[22:23], v[0:1], v[182:183], -v[8:9]
	buffer_load_dword v0, off, s[40:43], 0 offset:964 ; 4-byte Folded Reload
	buffer_load_dword v1, off, s[40:43], 0 offset:968 ; 4-byte Folded Reload
	buffer_load_dword v2, off, s[40:43], 0 offset:972 ; 4-byte Folded Reload
	buffer_load_dword v3, off, s[40:43], 0 offset:976 ; 4-byte Folded Reload
	s_waitcnt vmcnt(0)
	v_mul_f64 v[8:9], v[2:3], v[178:179]
	v_fma_f64 v[4:5], v[0:1], v[176:177], v[8:9]
	v_mul_f64 v[8:9], v[2:3], v[176:177]
	v_fma_f64 v[2:3], v[0:1], v[178:179], -v[8:9]
	;; [unrolled: 9-line block ×21, first 2 shown]
	buffer_load_dword v110, off, s[40:43], 0 offset:2048 ; 4-byte Folded Reload
	buffer_load_dword v111, off, s[40:43], 0 offset:2052 ; 4-byte Folded Reload
	;; [unrolled: 1-line block ×8, first 2 shown]
	s_waitcnt vmcnt(4)
	v_mul_f64 v[102:103], v[112:113], v[98:99]
	v_fma_f64 v[102:103], v[110:111], v[96:97], v[102:103]
	v_mul_f64 v[96:97], v[112:113], v[96:97]
	v_fma_f64 v[110:111], v[110:111], v[98:99], -v[96:97]
	s_waitcnt vmcnt(0)
	v_mul_f64 v[96:97], v[116:117], v[94:95]
	v_add_f64 v[98:99], v[192:193], v[254:255]
	v_fma_f64 v[112:113], v[114:115], v[92:93], v[96:97]
	v_mul_f64 v[92:93], v[116:117], v[92:93]
	v_fma_f64 v[114:115], v[114:115], v[94:95], -v[92:93]
	buffer_load_dword v94, off, s[40:43], 0 offset:2128 ; 4-byte Folded Reload
	buffer_load_dword v95, off, s[40:43], 0 offset:2132 ; 4-byte Folded Reload
	buffer_load_dword v96, off, s[40:43], 0 offset:2136 ; 4-byte Folded Reload
	buffer_load_dword v97, off, s[40:43], 0 offset:2140 ; 4-byte Folded Reload
	s_waitcnt vmcnt(0)
	v_mul_f64 v[92:93], v[96:97], v[90:91]
	v_fma_f64 v[136:137], v[94:95], v[88:89], v[92:93]
	v_mul_f64 v[88:89], v[96:97], v[88:89]
	v_fma_f64 v[138:139], v[94:95], v[90:91], -v[88:89]
	buffer_load_dword v90, off, s[40:43], 0 offset:2144 ; 4-byte Folded Reload
	buffer_load_dword v91, off, s[40:43], 0 offset:2148 ; 4-byte Folded Reload
	buffer_load_dword v92, off, s[40:43], 0 offset:2152 ; 4-byte Folded Reload
	buffer_load_dword v93, off, s[40:43], 0 offset:2156 ; 4-byte Folded Reload
	s_waitcnt vmcnt(0)
	v_mul_f64 v[88:89], v[92:93], v[86:87]
	;; [unrolled: 9-line block ×5, first 2 shown]
	v_fma_f64 v[116:117], v[80:81], v[64:65], v[72:73]
	buffer_load_dword v72, off, s[40:43], 0 offset:2344 ; 4-byte Folded Reload
	buffer_load_dword v73, off, s[40:43], 0 offset:2348 ; 4-byte Folded Reload
	;; [unrolled: 1-line block ×4, first 2 shown]
	v_mul_f64 v[64:65], v[82:83], v[64:65]
	v_fma_f64 v[118:119], v[80:81], v[66:67], -v[64:65]
	s_waitcnt vmcnt(0)
	v_mul_f64 v[64:65], v[74:75], v[62:63]
	v_fma_f64 v[120:121], v[72:73], v[60:61], v[64:65]
	v_mul_f64 v[60:61], v[74:75], v[60:61]
	v_add_f64 v[74:75], v[8:9], v[210:211]
	v_add_f64 v[8:9], v[210:211], -v[8:9]
	v_fma_f64 v[122:123], v[72:73], v[62:63], -v[60:61]
	buffer_load_dword v62, off, s[40:43], 0 offset:2360 ; 4-byte Folded Reload
	buffer_load_dword v63, off, s[40:43], 0 offset:2364 ; 4-byte Folded Reload
	buffer_load_dword v64, off, s[40:43], 0 offset:2368 ; 4-byte Folded Reload
	buffer_load_dword v65, off, s[40:43], 0 offset:2372 ; 4-byte Folded Reload
	s_waitcnt vmcnt(0)
	v_mul_f64 v[60:61], v[64:65], v[58:59]
	v_fma_f64 v[124:125], v[62:63], v[56:57], v[60:61]
	v_mul_f64 v[56:57], v[64:65], v[56:57]
	v_fma_f64 v[126:127], v[62:63], v[58:59], -v[56:57]
	buffer_load_dword v58, off, s[40:43], 0 offset:2376 ; 4-byte Folded Reload
	buffer_load_dword v59, off, s[40:43], 0 offset:2380 ; 4-byte Folded Reload
	buffer_load_dword v60, off, s[40:43], 0 offset:2384 ; 4-byte Folded Reload
	buffer_load_dword v61, off, s[40:43], 0 offset:2388 ; 4-byte Folded Reload
	s_waitcnt vmcnt(0)
	v_mul_f64 v[56:57], v[60:61], v[54:55]
	v_fma_f64 v[128:129], v[58:59], v[52:53], v[56:57]
	v_mul_f64 v[52:53], v[60:61], v[52:53]
	;; [unrolled: 9-line block ×4, first 2 shown]
	v_add_f64 v[52:53], v[244:245], -v[240:241]
	v_fma_f64 v[142:143], v[50:51], v[46:47], -v[44:45]
	buffer_load_dword v46, off, s[40:43], 0 offset:2528 ; 4-byte Folded Reload
	buffer_load_dword v47, off, s[40:43], 0 offset:2532 ; 4-byte Folded Reload
	;; [unrolled: 1-line block ×4, first 2 shown]
	v_add_f64 v[50:51], v[242:243], -v[238:239]
	s_waitcnt vmcnt(0) lgkmcnt(5)
	v_mul_f64 v[44:45], v[48:49], v[42:43]
	v_fma_f64 v[96:97], v[46:47], v[40:41], v[44:45]
	v_mul_f64 v[40:41], v[48:49], v[40:41]
	v_add_f64 v[48:49], v[240:241], v[244:245]
	v_fma_f64 v[146:147], v[46:47], v[42:43], -v[40:41]
	buffer_load_dword v42, off, s[40:43], 0 offset:2544 ; 4-byte Folded Reload
	buffer_load_dword v43, off, s[40:43], 0 offset:2548 ; 4-byte Folded Reload
	buffer_load_dword v44, off, s[40:43], 0 offset:2552 ; 4-byte Folded Reload
	buffer_load_dword v45, off, s[40:43], 0 offset:2556 ; 4-byte Folded Reload
	s_waitcnt vmcnt(0) lgkmcnt(4)
	v_mul_f64 v[40:41], v[44:45], v[38:39]
	v_fma_f64 v[156:157], v[42:43], v[36:37], v[40:41]
	v_mul_f64 v[36:37], v[44:45], v[36:37]
	v_fma_f64 v[158:159], v[42:43], v[38:39], -v[36:37]
	buffer_load_dword v38, off, s[40:43], 0 offset:2560 ; 4-byte Folded Reload
	buffer_load_dword v39, off, s[40:43], 0 offset:2564 ; 4-byte Folded Reload
	buffer_load_dword v40, off, s[40:43], 0 offset:2568 ; 4-byte Folded Reload
	buffer_load_dword v41, off, s[40:43], 0 offset:2572 ; 4-byte Folded Reload
	s_waitcnt vmcnt(0) lgkmcnt(3)
	v_mul_f64 v[36:37], v[40:41], v[30:31]
	v_fma_f64 v[160:161], v[38:39], v[28:29], v[36:37]
	v_mul_f64 v[28:29], v[40:41], v[28:29]
	;; [unrolled: 9-line block ×4, first 2 shown]
	v_fma_f64 v[174:175], v[26:27], v[18:19], -v[16:17]
	buffer_load_dword v24, off, s[40:43], 0 offset:2660 ; 4-byte Folded Reload
	buffer_load_dword v25, off, s[40:43], 0 offset:2664 ; 4-byte Folded Reload
	;; [unrolled: 1-line block ×4, first 2 shown]
	v_add_f64 v[18:19], v[32:33], v[2:3]
	v_add_f64 v[2:3], v[32:33], -v[2:3]
	s_waitcnt vmcnt(0) lgkmcnt(0)
	v_mul_f64 v[16:17], v[26:27], v[14:15]
	v_fma_f64 v[176:177], v[24:25], v[12:13], v[16:17]
	v_mul_f64 v[12:13], v[26:27], v[12:13]
	v_add_f64 v[16:17], v[20:21], -v[70:71]
	v_fma_f64 v[178:179], v[24:25], v[14:15], -v[12:13]
	v_add_f64 v[12:13], v[20:21], v[70:71]
	v_add_f64 v[14:15], v[6:7], v[0:1]
	v_add_f64 v[0:1], v[6:7], -v[0:1]
	v_add_f64 v[6:7], v[34:35], v[4:5]
	v_add_f64 v[4:5], v[34:35], -v[4:5]
	v_add_f64 v[20:21], v[76:77], v[10:11]
	v_add_f64 v[24:25], v[68:69], v[22:23]
	v_add_f64 v[10:11], v[10:11], -v[76:77]
	v_add_f64 v[22:23], v[22:23], -v[68:69]
	v_add_f64 v[28:29], v[18:19], v[14:15]
	v_add_f64 v[32:33], v[18:19], -v[14:15]
	v_add_f64 v[26:27], v[6:7], v[12:13]
	v_add_f64 v[30:31], v[6:7], -v[12:13]
	v_add_f64 v[12:13], v[12:13], -v[20:21]
	;; [unrolled: 1-line block ×5, first 2 shown]
	v_add_f64 v[6:7], v[10:11], v[4:5]
	v_add_f64 v[36:37], v[22:23], v[2:3]
	v_add_f64 v[38:39], v[10:11], -v[4:5]
	v_add_f64 v[40:41], v[22:23], -v[2:3]
	;; [unrolled: 1-line block ×3, first 2 shown]
	v_add_f64 v[20:21], v[20:21], v[26:27]
	v_add_f64 v[24:25], v[24:25], v[28:29]
	v_add_f64 v[10:11], v[16:17], -v[10:11]
	v_add_f64 v[22:23], v[0:1], -v[22:23]
	;; [unrolled: 1-line block ×3, first 2 shown]
	v_add_f64 v[16:17], v[6:7], v[16:17]
	v_add_f64 v[0:1], v[36:37], v[0:1]
	v_mul_f64 v[12:13], v[12:13], s[26:27]
	v_add_f64 v[4:5], v[199:200], v[20:21]
	v_add_f64 v[6:7], v[201:202], v[24:25]
	v_mul_f64 v[14:15], v[14:15], s[26:27]
	v_mul_f64 v[26:27], v[34:35], s[6:7]
	;; [unrolled: 1-line block ×7, first 2 shown]
	v_fma_f64 v[20:21], v[20:21], s[18:19], v[4:5]
	v_fma_f64 v[24:25], v[24:25], s[18:19], v[6:7]
	;; [unrolled: 1-line block ×4, first 2 shown]
	v_fma_f64 v[26:27], v[30:31], s[14:15], -v[26:27]
	v_fma_f64 v[28:29], v[32:33], s[14:15], -v[28:29]
	;; [unrolled: 1-line block ×4, first 2 shown]
	v_fma_f64 v[32:33], v[22:23], s[22:23], v[38:39]
	v_fma_f64 v[2:3], v[2:3], s[4:5], -v[38:39]
	v_fma_f64 v[22:23], v[22:23], s[8:9], v[44:45]
	v_fma_f64 v[30:31], v[10:11], s[22:23], v[36:37]
	v_fma_f64 v[36:37], v[42:43], s[4:5], -v[36:37]
	v_fma_f64 v[10:11], v[10:11], s[8:9], v[40:41]
	v_add_f64 v[34:35], v[34:35], v[20:21]
	v_add_f64 v[44:45], v[18:19], v[24:25]
	;; [unrolled: 1-line block ×4, first 2 shown]
	v_fma_f64 v[32:33], v[0:1], s[2:3], v[32:33]
	v_fma_f64 v[2:3], v[0:1], s[2:3], v[2:3]
	v_fma_f64 v[0:1], v[0:1], s[2:3], v[22:23]
	v_add_f64 v[26:27], v[28:29], v[24:25]
	v_add_f64 v[14:15], v[14:15], v[24:25]
	v_fma_f64 v[20:21], v[16:17], s[2:3], v[30:31]
	v_fma_f64 v[46:47], v[16:17], s[2:3], v[36:37]
	;; [unrolled: 1-line block ×3, first 2 shown]
	v_add_f64 v[36:37], v[32:33], v[34:35]
	v_add_f64 v[28:29], v[18:19], -v[2:3]
	v_add_f64 v[40:41], v[0:1], v[12:13]
	v_add_f64 v[24:25], v[2:3], v[18:19]
	v_add_f64 v[16:17], v[12:13], -v[0:1]
	v_add_f64 v[12:13], v[34:35], -v[32:33]
	v_add_f64 v[0:1], v[222:223], v[250:251]
	v_add_f64 v[2:3], v[224:225], v[252:253]
	;; [unrolled: 1-line block ×4, first 2 shown]
	v_add_f64 v[38:39], v[44:45], -v[20:21]
	v_add_f64 v[42:43], v[14:15], -v[10:11]
	v_add_f64 v[30:31], v[46:47], v[26:27]
	v_add_f64 v[26:27], v[26:27], -v[46:47]
	v_add_f64 v[18:19], v[10:11], v[14:15]
	v_add_f64 v[14:15], v[20:21], v[44:45]
	v_add_f64 v[10:11], v[222:223], -v[250:251]
	v_add_f64 v[20:21], v[224:225], -v[252:253]
	;; [unrolled: 1-line block ×4, first 2 shown]
	v_add_f64 v[46:47], v[238:239], v[242:243]
	v_add_f64 v[54:55], v[22:23], v[0:1]
	;; [unrolled: 1-line block ×3, first 2 shown]
	v_add_f64 v[58:59], v[22:23], -v[0:1]
	v_add_f64 v[60:61], v[32:33], -v[2:3]
	;; [unrolled: 1-line block ×4, first 2 shown]
	v_add_f64 v[2:3], v[52:53], v[44:45]
	v_add_f64 v[62:63], v[0:1], -v[46:47]
	v_add_f64 v[22:23], v[46:47], -v[22:23]
	v_add_f64 v[0:1], v[50:51], v[34:35]
	v_add_f64 v[66:67], v[50:51], -v[34:35]
	v_add_f64 v[68:69], v[52:53], -v[44:45]
	;; [unrolled: 1-line block ×4, first 2 shown]
	v_add_f64 v[46:47], v[46:47], v[54:55]
	v_add_f64 v[48:49], v[48:49], v[56:57]
	v_add_f64 v[50:51], v[10:11], -v[50:51]
	v_add_f64 v[52:53], v[20:21], -v[52:53]
	v_add_f64 v[10:11], v[0:1], v[10:11]
	v_add_f64 v[20:21], v[2:3], v[20:21]
	v_mul_f64 v[54:55], v[62:63], s[26:27]
	v_mul_f64 v[56:57], v[64:65], s[26:27]
	v_add_f64 v[0:1], v[203:204], v[46:47]
	v_add_f64 v[2:3], v[205:206], v[48:49]
	v_mul_f64 v[62:63], v[22:23], s[6:7]
	v_mul_f64 v[64:65], v[32:33], s[6:7]
	;; [unrolled: 1-line block ×6, first 2 shown]
	v_fma_f64 v[46:47], v[46:47], s[18:19], v[0:1]
	v_fma_f64 v[48:49], v[48:49], s[18:19], v[2:3]
	;; [unrolled: 1-line block ×4, first 2 shown]
	v_fma_f64 v[62:63], v[58:59], s[14:15], -v[62:63]
	v_fma_f64 v[64:65], v[60:61], s[14:15], -v[64:65]
	;; [unrolled: 1-line block ×4, first 2 shown]
	v_fma_f64 v[58:59], v[50:51], s[22:23], v[66:67]
	v_fma_f64 v[60:61], v[52:53], s[22:23], v[68:69]
	v_fma_f64 v[34:35], v[34:35], s[4:5], -v[66:67]
	v_fma_f64 v[44:45], v[44:45], s[4:5], -v[68:69]
	v_fma_f64 v[50:51], v[50:51], s[8:9], v[70:71]
	v_fma_f64 v[52:53], v[52:53], s[8:9], v[72:73]
	v_add_f64 v[62:63], v[62:63], v[46:47]
	v_add_f64 v[64:65], v[64:65], v[48:49]
	;; [unrolled: 1-line block ×4, first 2 shown]
	v_fma_f64 v[70:71], v[10:11], s[2:3], v[58:59]
	v_fma_f64 v[72:73], v[20:21], s[2:3], v[60:61]
	;; [unrolled: 1-line block ×6, first 2 shown]
	v_add_f64 v[22:23], v[22:23], v[46:47]
	v_add_f64 v[32:33], v[32:33], v[48:49]
	;; [unrolled: 1-line block ×4, first 2 shown]
	v_add_f64 v[52:53], v[62:63], -v[56:57]
	v_add_f64 v[50:51], v[68:69], -v[10:11]
	v_add_f64 v[48:49], v[20:21], v[66:67]
	v_add_f64 v[56:57], v[56:57], v[62:63]
	v_add_f64 v[58:59], v[64:65], -v[34:35]
	v_add_f64 v[60:61], v[66:67], -v[20:21]
	v_add_f64 v[62:63], v[10:11], v[68:69]
	v_add_f64 v[10:11], v[184:185], v[218:219]
	;; [unrolled: 1-line block ×6, first 2 shown]
	v_add_f64 v[46:47], v[32:33], -v[70:71]
	v_add_f64 v[64:65], v[22:23], -v[72:73]
	v_add_f64 v[66:67], v[70:71], v[32:33]
	v_add_f64 v[22:23], v[184:185], -v[218:219]
	v_add_f64 v[32:33], v[186:187], -v[220:221]
	v_add_f64 v[70:71], v[144:145], -v[214:215]
	v_add_f64 v[72:73], v[78:79], -v[216:217]
	v_add_f64 v[78:79], v[212:213], -v[208:209]
	v_add_f64 v[80:81], v[34:35], v[10:11]
	v_add_f64 v[82:83], v[68:69], v[20:21]
	v_add_f64 v[84:85], v[34:35], -v[10:11]
	v_add_f64 v[86:87], v[68:69], -v[20:21]
	;; [unrolled: 1-line block ×6, first 2 shown]
	v_add_f64 v[88:89], v[8:9], v[70:71]
	v_add_f64 v[90:91], v[78:79], v[72:73]
	v_add_f64 v[92:93], v[8:9], -v[70:71]
	v_add_f64 v[94:95], v[78:79], -v[72:73]
	;; [unrolled: 1-line block ×4, first 2 shown]
	v_add_f64 v[74:75], v[74:75], v[80:81]
	v_add_f64 v[76:77], v[76:77], v[82:83]
	v_add_f64 v[8:9], v[22:23], -v[8:9]
	v_add_f64 v[78:79], v[32:33], -v[78:79]
	v_add_f64 v[22:23], v[88:89], v[22:23]
	v_add_f64 v[32:33], v[90:91], v[32:33]
	v_mul_f64 v[10:11], v[10:11], s[26:27]
	v_mul_f64 v[20:21], v[20:21], s[26:27]
	v_add_f64 v[184:185], v[228:229], v[74:75]
	v_add_f64 v[186:187], v[230:231], v[76:77]
	v_mul_f64 v[80:81], v[34:35], s[6:7]
	v_mul_f64 v[82:83], v[68:69], s[6:7]
	;; [unrolled: 1-line block ×6, first 2 shown]
	v_fma_f64 v[74:75], v[74:75], s[18:19], v[184:185]
	v_fma_f64 v[76:77], v[76:77], s[18:19], v[186:187]
	;; [unrolled: 1-line block ×4, first 2 shown]
	v_fma_f64 v[80:81], v[84:85], s[14:15], -v[80:81]
	v_fma_f64 v[82:83], v[86:87], s[14:15], -v[82:83]
	;; [unrolled: 1-line block ×4, first 2 shown]
	v_fma_f64 v[84:85], v[8:9], s[22:23], v[88:89]
	v_fma_f64 v[86:87], v[78:79], s[22:23], v[90:91]
	v_fma_f64 v[70:71], v[70:71], s[4:5], -v[88:89]
	v_fma_f64 v[72:73], v[72:73], s[4:5], -v[90:91]
	v_fma_f64 v[8:9], v[8:9], s[8:9], v[92:93]
	v_fma_f64 v[78:79], v[78:79], s[8:9], v[94:95]
	v_add_f64 v[34:35], v[34:35], v[74:75]
	v_add_f64 v[94:95], v[68:69], v[76:77]
	;; [unrolled: 1-line block ×6, first 2 shown]
	v_fma_f64 v[76:77], v[22:23], s[2:3], v[84:85]
	v_fma_f64 v[92:93], v[32:33], s[2:3], v[86:87]
	;; [unrolled: 1-line block ×6, first 2 shown]
	v_add_f64 v[32:33], v[188:189], v[197:198]
	v_add_f64 v[78:79], v[190:191], -v[104:105]
	v_add_f64 v[70:71], v[94:95], -v[76:77]
	v_add_f64 v[68:69], v[92:93], v[34:35]
	v_add_f64 v[82:83], v[86:87], v[90:91]
	v_add_f64 v[80:81], v[88:89], -v[84:85]
	v_add_f64 v[74:75], v[20:21], -v[8:9]
	v_add_f64 v[72:73], v[22:23], v[10:11]
	v_add_f64 v[84:85], v[84:85], v[88:89]
	v_add_f64 v[86:87], v[90:91], -v[86:87]
	v_add_f64 v[88:89], v[10:11], -v[22:23]
	v_add_f64 v[90:91], v[8:9], v[20:21]
	v_add_f64 v[92:93], v[34:35], -v[92:93]
	v_add_f64 v[8:9], v[180:181], v[106:107]
	v_add_f64 v[10:11], v[182:183], v[100:101]
	;; [unrolled: 1-line block ×4, first 2 shown]
	v_add_f64 v[20:21], v[180:181], -v[106:107]
	v_add_f64 v[22:23], v[182:183], -v[100:101]
	;; [unrolled: 1-line block ×3, first 2 shown]
	v_add_f64 v[100:101], v[194:195], v[108:109]
	v_add_f64 v[104:105], v[254:255], -v[192:193]
	v_add_f64 v[106:107], v[108:109], -v[194:195]
	v_add_f64 v[108:109], v[32:33], v[8:9]
	v_add_f64 v[144:145], v[34:35], v[10:11]
	v_add_f64 v[180:181], v[32:33], -v[8:9]
	v_add_f64 v[182:183], v[34:35], -v[10:11]
	;; [unrolled: 1-line block ×6, first 2 shown]
	v_add_f64 v[32:33], v[104:105], v[76:77]
	v_add_f64 v[34:35], v[106:107], v[78:79]
	v_add_f64 v[192:193], v[104:105], -v[76:77]
	v_add_f64 v[194:195], v[106:107], -v[78:79]
	v_add_f64 v[76:77], v[76:77], -v[20:21]
	v_add_f64 v[78:79], v[78:79], -v[22:23]
	v_add_f64 v[98:99], v[98:99], v[108:109]
	v_add_f64 v[100:101], v[100:101], v[144:145]
	v_add_f64 v[104:105], v[20:21], -v[104:105]
	v_add_f64 v[106:107], v[22:23], -v[106:107]
	v_add_f64 v[20:21], v[32:33], v[20:21]
	v_add_f64 v[22:23], v[34:35], v[22:23]
	v_mul_f64 v[8:9], v[8:9], s[26:27]
	v_mul_f64 v[10:11], v[10:11], s[26:27]
	v_add_f64 v[32:33], v[232:233], v[98:99]
	v_add_f64 v[34:35], v[234:235], v[100:101]
	v_mul_f64 v[108:109], v[188:189], s[6:7]
	v_mul_f64 v[144:145], v[190:191], s[6:7]
	;; [unrolled: 1-line block ×6, first 2 shown]
	v_fma_f64 v[98:99], v[98:99], s[18:19], v[32:33]
	v_fma_f64 v[100:101], v[100:101], s[18:19], v[34:35]
	;; [unrolled: 1-line block ×4, first 2 shown]
	v_fma_f64 v[108:109], v[180:181], s[14:15], -v[108:109]
	v_fma_f64 v[144:145], v[182:183], s[14:15], -v[144:145]
	;; [unrolled: 1-line block ×4, first 2 shown]
	v_fma_f64 v[180:181], v[104:105], s[22:23], v[192:193]
	v_fma_f64 v[182:183], v[106:107], s[22:23], v[194:195]
	v_fma_f64 v[76:77], v[76:77], s[4:5], -v[192:193]
	v_fma_f64 v[78:79], v[78:79], s[4:5], -v[194:195]
	v_fma_f64 v[104:105], v[104:105], s[8:9], v[197:198]
	v_fma_f64 v[106:107], v[106:107], s[8:9], v[199:200]
	v_add_f64 v[108:109], v[108:109], v[98:99]
	v_add_f64 v[144:145], v[144:145], v[100:101]
	;; [unrolled: 1-line block ×4, first 2 shown]
	v_fma_f64 v[197:198], v[20:21], s[2:3], v[180:181]
	v_fma_f64 v[199:200], v[22:23], s[2:3], v[182:183]
	;; [unrolled: 1-line block ×6, first 2 shown]
	v_add_f64 v[192:193], v[188:189], v[98:99]
	v_add_f64 v[194:195], v[190:191], v[100:101]
	;; [unrolled: 1-line block ×3, first 2 shown]
	v_add_f64 v[188:189], v[108:109], -v[78:79]
	v_add_f64 v[222:223], v[10:11], -v[20:21]
	v_add_f64 v[220:221], v[22:23], v[8:9]
	v_add_f64 v[98:99], v[78:79], v[108:109]
	v_add_f64 v[100:101], v[144:145], -v[76:77]
	v_add_f64 v[180:181], v[8:9], -v[22:23]
	v_add_f64 v[182:183], v[20:21], v[10:11]
	v_add_f64 v[8:9], v[102:103], v[164:165]
	v_add_f64 v[10:11], v[110:111], v[166:167]
	v_add_f64 v[20:21], v[102:103], -v[164:165]
	v_add_f64 v[22:23], v[110:111], -v[166:167]
	v_add_f64 v[76:77], v[112:113], v[152:153]
	v_add_f64 v[78:79], v[114:115], v[154:155]
	v_add_f64 v[102:103], v[112:113], -v[152:153]
	v_add_f64 v[108:109], v[114:115], -v[154:155]
	v_add_f64 v[110:111], v[136:137], v[148:149]
	v_add_f64 v[114:115], v[148:149], -v[136:137]
	v_add_f64 v[136:137], v[150:151], -v[138:139]
	v_add_f64 v[112:113], v[138:139], v[150:151]
	v_add_f64 v[138:139], v[76:77], v[8:9]
	;; [unrolled: 1-line block ×3, first 2 shown]
	v_add_f64 v[148:149], v[76:77], -v[8:9]
	v_add_f64 v[150:151], v[78:79], -v[10:11]
	;; [unrolled: 1-line block ×3, first 2 shown]
	v_add_f64 v[152:153], v[114:115], v[102:103]
	v_add_f64 v[154:155], v[136:137], v[108:109]
	v_add_f64 v[10:11], v[10:11], -v[112:113]
	v_add_f64 v[76:77], v[110:111], -v[76:77]
	v_add_f64 v[78:79], v[112:113], -v[78:79]
	v_add_f64 v[164:165], v[114:115], -v[102:103]
	v_add_f64 v[166:167], v[136:137], -v[108:109]
	v_add_f64 v[114:115], v[20:21], -v[114:115]
	v_add_f64 v[136:137], v[22:23], -v[136:137]
	v_add_f64 v[102:103], v[102:103], -v[20:21]
	v_add_f64 v[108:109], v[108:109], -v[22:23]
	v_add_f64 v[110:111], v[110:111], v[138:139]
	v_add_f64 v[112:113], v[112:113], v[144:145]
	;; [unrolled: 1-line block ×4, first 2 shown]
	buffer_load_dword v20, off, s[40:43], 0 offset:1724 ; 4-byte Folded Reload
	buffer_load_dword v21, off, s[40:43], 0 offset:1728 ; 4-byte Folded Reload
	;; [unrolled: 1-line block ×4, first 2 shown]
	v_add_f64 v[240:241], v[199:200], v[192:193]
	v_add_f64 v[242:243], v[194:195], -v[197:198]
	v_add_f64 v[104:105], v[192:193], -v[199:200]
	v_add_f64 v[106:107], v[197:198], v[194:195]
	v_mul_f64 v[8:9], v[8:9], s[26:27]
	v_mul_f64 v[10:11], v[10:11], s[26:27]
	;; [unrolled: 1-line block ×8, first 2 shown]
	v_fma_f64 v[76:77], v[76:77], s[6:7], v[8:9]
	v_fma_f64 v[78:79], v[78:79], s[6:7], v[10:11]
	v_fma_f64 v[152:153], v[148:149], s[14:15], -v[152:153]
	v_fma_f64 v[154:155], v[150:151], s[14:15], -v[154:155]
	;; [unrolled: 1-line block ×4, first 2 shown]
	v_fma_f64 v[148:149], v[114:115], s[22:23], v[164:165]
	v_fma_f64 v[150:151], v[136:137], s[22:23], v[166:167]
	v_fma_f64 v[102:103], v[102:103], s[4:5], -v[164:165]
	v_fma_f64 v[108:109], v[108:109], s[4:5], -v[166:167]
	v_fma_f64 v[114:115], v[114:115], s[8:9], v[192:193]
	v_fma_f64 v[136:137], v[136:137], s[8:9], v[194:195]
	;; [unrolled: 1-line block ×5, first 2 shown]
	s_waitcnt vmcnt(2)
	v_add_f64 v[20:21], v[20:21], v[110:111]
	s_waitcnt vmcnt(0)
	v_add_f64 v[22:23], v[22:23], v[112:113]
	v_fma_f64 v[110:111], v[110:111], s[18:19], v[20:21]
	v_fma_f64 v[112:113], v[112:113], s[18:19], v[22:23]
	v_add_f64 v[76:77], v[76:77], v[110:111]
	v_add_f64 v[78:79], v[78:79], v[112:113]
	v_add_f64 v[192:193], v[152:153], v[110:111]
	v_add_f64 v[194:195], v[154:155], v[112:113]
	v_add_f64 v[8:9], v[8:9], v[110:111]
	v_add_f64 v[10:11], v[10:11], v[112:113]
	v_fma_f64 v[112:113], v[144:145], s[2:3], v[150:151]
	v_fma_f64 v[110:111], v[138:139], s[2:3], v[114:115]
	;; [unrolled: 1-line block ×3, first 2 shown]
	v_add_f64 v[166:167], v[78:79], -v[197:198]
	v_add_f64 v[148:149], v[192:193], -v[108:109]
	v_add_f64 v[150:151], v[102:103], v[194:195]
	v_add_f64 v[136:137], v[108:109], v[192:193]
	v_add_f64 v[138:139], v[194:195], -v[102:103]
	v_add_f64 v[164:165], v[112:113], v[76:77]
	v_add_f64 v[154:155], v[10:11], -v[110:111]
	;; [unrolled: 2-line block ×4, first 2 shown]
	v_add_f64 v[114:115], v[197:198], v[78:79]
	v_add_f64 v[8:9], v[116:117], v[140:141]
	;; [unrolled: 1-line block ×3, first 2 shown]
	v_add_f64 v[76:77], v[116:117], -v[140:141]
	v_add_f64 v[78:79], v[118:119], -v[142:143]
	v_add_f64 v[102:103], v[120:121], v[132:133]
	v_add_f64 v[116:117], v[122:123], v[134:135]
	v_add_f64 v[118:119], v[120:121], -v[132:133]
	v_add_f64 v[120:121], v[122:123], -v[134:135]
	v_add_f64 v[122:123], v[124:125], v[128:129]
	v_add_f64 v[132:133], v[126:127], v[130:131]
	;; [unrolled: 4-line block ×3, first 2 shown]
	v_add_f64 v[134:135], v[102:103], -v[8:9]
	v_add_f64 v[140:141], v[116:117], -v[10:11]
	;; [unrolled: 1-line block ×4, first 2 shown]
	v_add_f64 v[142:143], v[124:125], v[118:119]
	v_add_f64 v[144:145], v[126:127], v[120:121]
	v_add_f64 v[102:103], v[122:123], -v[102:103]
	v_add_f64 v[116:117], v[132:133], -v[116:117]
	;; [unrolled: 1-line block ×8, first 2 shown]
	v_add_f64 v[122:123], v[122:123], v[128:129]
	v_add_f64 v[128:129], v[132:133], v[130:131]
	;; [unrolled: 1-line block ×4, first 2 shown]
	buffer_load_dword v76, off, s[40:43], 0 offset:1284 ; 4-byte Folded Reload
	buffer_load_dword v77, off, s[40:43], 0 offset:1288 ; 4-byte Folded Reload
	buffer_load_dword v78, off, s[40:43], 0 offset:1292 ; 4-byte Folded Reload
	buffer_load_dword v79, off, s[40:43], 0 offset:1296 ; 4-byte Folded Reload
	v_mul_f64 v[8:9], v[8:9], s[26:27]
	v_mul_f64 v[10:11], v[10:11], s[26:27]
	;; [unrolled: 1-line block ×8, first 2 shown]
	v_fma_f64 v[102:103], v[102:103], s[6:7], v[8:9]
	v_fma_f64 v[116:117], v[116:117], s[6:7], v[10:11]
	v_fma_f64 v[142:143], v[134:135], s[14:15], -v[142:143]
	v_fma_f64 v[144:145], v[140:141], s[14:15], -v[144:145]
	;; [unrolled: 1-line block ×4, first 2 shown]
	v_fma_f64 v[134:135], v[124:125], s[22:23], v[192:193]
	v_fma_f64 v[140:141], v[126:127], s[22:23], v[194:195]
	v_fma_f64 v[118:119], v[118:119], s[4:5], -v[192:193]
	v_fma_f64 v[120:121], v[120:121], s[4:5], -v[194:195]
	v_fma_f64 v[124:125], v[124:125], s[8:9], v[197:198]
	v_fma_f64 v[126:127], v[126:127], s[8:9], v[199:200]
	;; [unrolled: 1-line block ×6, first 2 shown]
	s_waitcnt vmcnt(2)
	v_add_f64 v[76:77], v[76:77], v[122:123]
	s_waitcnt vmcnt(0)
	v_add_f64 v[78:79], v[78:79], v[128:129]
	v_fma_f64 v[122:123], v[122:123], s[18:19], v[76:77]
	v_fma_f64 v[128:129], v[128:129], s[18:19], v[78:79]
	v_add_f64 v[102:103], v[102:103], v[122:123]
	v_add_f64 v[192:193], v[116:117], v[128:129]
	;; [unrolled: 1-line block ×5, first 2 shown]
	v_fma_f64 v[128:129], v[132:133], s[2:3], v[120:121]
	v_fma_f64 v[132:133], v[132:133], s[2:3], v[126:127]
	v_add_f64 v[142:143], v[142:143], v[122:123]
	v_add_f64 v[116:117], v[140:141], v[102:103]
	v_add_f64 v[140:141], v[102:103], -v[140:141]
	v_add_f64 v[126:127], v[134:135], v[144:145]
	v_add_f64 v[130:131], v[144:145], -v[134:135]
	v_add_f64 v[122:123], v[10:11], -v[197:198]
	v_add_f64 v[134:135], v[197:198], v[10:11]
	v_add_f64 v[120:121], v[132:133], v[8:9]
	v_add_f64 v[132:133], v[8:9], -v[132:133]
	v_add_f64 v[8:9], v[96:97], v[176:177]
	v_add_f64 v[10:11], v[146:147], v[178:179]
	;; [unrolled: 3-line block ×3, first 2 shown]
	v_add_f64 v[156:157], v[156:157], -v[172:173]
	v_add_f64 v[158:159], v[158:159], -v[174:175]
	v_add_f64 v[172:173], v[160:161], v[168:169]
	v_add_f64 v[174:175], v[162:163], v[170:171]
	v_add_f64 v[160:161], v[168:169], -v[160:161]
	v_add_f64 v[162:163], v[170:171], -v[162:163]
	;; [unrolled: 1-line block ×4, first 2 shown]
	v_add_f64 v[128:129], v[128:129], v[142:143]
	v_add_f64 v[142:143], v[194:195], v[192:193]
	v_add_f64 v[96:97], v[96:97], -v[176:177]
	v_add_f64 v[168:169], v[144:145], v[8:9]
	v_add_f64 v[170:171], v[146:147], v[10:11]
	v_add_f64 v[176:177], v[144:145], -v[8:9]
	v_add_f64 v[178:179], v[146:147], -v[10:11]
	;; [unrolled: 1-line block ×4, first 2 shown]
	v_add_f64 v[8:9], v[160:161], v[156:157]
	v_add_f64 v[10:11], v[162:163], v[158:159]
	v_add_f64 v[197:198], v[160:161], -v[156:157]
	v_add_f64 v[199:200], v[162:163], -v[158:159]
	;; [unrolled: 1-line block ×6, first 2 shown]
	v_add_f64 v[96:97], v[8:9], v[96:97]
	v_add_f64 v[102:103], v[10:11], v[102:103]
	buffer_load_dword v8, off, s[40:43], 0 offset:796 ; 4-byte Folded Reload
	buffer_load_dword v9, off, s[40:43], 0 offset:800 ; 4-byte Folded Reload
	;; [unrolled: 1-line block ×4, first 2 shown]
	v_add_f64 v[144:145], v[172:173], -v[144:145]
	v_add_f64 v[146:147], v[174:175], -v[146:147]
	v_add_f64 v[170:171], v[174:175], v[170:171]
	v_add_f64 v[168:169], v[172:173], v[168:169]
	v_mul_f64 v[172:173], v[192:193], s[26:27]
	v_mul_f64 v[174:175], v[194:195], s[26:27]
	;; [unrolled: 1-line block ×8, first 2 shown]
	v_fma_f64 v[144:145], v[144:145], s[6:7], v[172:173]
	v_fma_f64 v[146:147], v[146:147], s[6:7], v[174:175]
	v_fma_f64 v[172:173], v[176:177], s[16:17], -v[172:173]
	v_fma_f64 v[174:175], v[178:179], s[16:17], -v[174:175]
	;; [unrolled: 1-line block ×4, first 2 shown]
	v_fma_f64 v[176:177], v[160:161], s[22:23], v[197:198]
	v_fma_f64 v[156:157], v[156:157], s[4:5], -v[197:198]
	v_fma_f64 v[160:161], v[160:161], s[8:9], v[201:202]
	v_fma_f64 v[178:179], v[162:163], s[22:23], v[199:200]
	v_fma_f64 v[158:159], v[158:159], s[4:5], -v[199:200]
	s_waitcnt lgkmcnt(0)
	; wave barrier
	v_fma_f64 v[162:163], v[162:163], s[8:9], v[203:204]
	v_fma_f64 v[201:202], v[96:97], s[2:3], v[176:177]
	;; [unrolled: 1-line block ×3, first 2 shown]
	s_waitcnt vmcnt(0)
	v_add_f64 v[10:11], v[10:11], v[170:171]
	v_add_f64 v[8:9], v[8:9], v[168:169]
	v_fma_f64 v[170:171], v[170:171], s[18:19], v[10:11]
	v_fma_f64 v[168:169], v[168:169], s[18:19], v[8:9]
	v_add_f64 v[199:200], v[146:147], v[170:171]
	v_add_f64 v[194:195], v[194:195], v[170:171]
	;; [unrolled: 1-line block ×3, first 2 shown]
	v_fma_f64 v[170:171], v[96:97], s[2:3], v[156:157]
	v_fma_f64 v[96:97], v[96:97], s[2:3], v[160:161]
	v_add_f64 v[197:198], v[144:145], v[168:169]
	v_add_f64 v[192:193], v[192:193], v[168:169]
	;; [unrolled: 1-line block ×3, first 2 shown]
	v_fma_f64 v[168:169], v[102:103], s[2:3], v[158:159]
	v_fma_f64 v[102:103], v[102:103], s[2:3], v[162:163]
	v_add_f64 v[146:147], v[199:200], -v[201:202]
	v_add_f64 v[162:163], v[170:171], v[194:195]
	v_add_f64 v[158:159], v[174:175], -v[96:97]
	v_add_f64 v[174:175], v[96:97], v[174:175]
	buffer_load_dword v96, off, s[40:43], 0 offset:2840 ; 4-byte Folded Reload
	s_waitcnt vmcnt(0)
	ds_write_b128 v96, v[4:7]
	ds_write_b128 v96, v[36:39] offset:112
	ds_write_b128 v96, v[40:43] offset:224
	ds_write_b128 v96, v[28:31] offset:336
	ds_write_b128 v96, v[24:27] offset:448
	ds_write_b128 v96, v[16:19] offset:560
	ds_write_b128 v96, v[12:15] offset:672
	buffer_load_dword v4, off, s[40:43], 0 offset:2836 ; 4-byte Folded Reload
	s_waitcnt vmcnt(0)
	ds_write_b128 v4, v[0:3]
	ds_write_b128 v4, v[44:47] offset:112
	ds_write_b128 v4, v[48:51] offset:224
	ds_write_b128 v4, v[52:55] offset:336
	ds_write_b128 v4, v[56:59] offset:448
	ds_write_b128 v4, v[60:63] offset:560
	ds_write_b128 v4, v[64:67] offset:672
	;; [unrolled: 9-line block ×6, first 2 shown]
	buffer_load_dword v0, off, s[40:43], 0 offset:812 ; 4-byte Folded Reload
	v_add_f64 v[144:145], v[176:177], v[197:198]
	v_add_f64 v[156:157], v[102:103], v[172:173]
	v_add_f64 v[160:161], v[192:193], -v[168:169]
	v_add_f64 v[168:169], v[168:169], v[192:193]
	v_add_f64 v[170:171], v[194:195], -v[170:171]
	v_add_f64 v[172:173], v[172:173], -v[102:103]
	;; [unrolled: 1-line block ×3, first 2 shown]
	v_add_f64 v[178:179], v[201:202], v[199:200]
	s_waitcnt vmcnt(0)
	ds_write_b128 v0, v[8:11]
	ds_write_b128 v0, v[144:147] offset:112
	ds_write_b128 v0, v[156:159] offset:224
	;; [unrolled: 1-line block ×6, first 2 shown]
	s_waitcnt lgkmcnt(0)
	; wave barrier
	s_waitcnt lgkmcnt(0)
	ds_read_b128 v[8:11], v196
	ds_read_b128 v[192:195], v196 offset:5488
	ds_read_b128 v[188:191], v196 offset:10976
	;; [unrolled: 1-line block ×48, first 2 shown]
	buffer_load_dword v199, off, s[40:43], 0 offset:1092 ; 4-byte Folded Reload
	buffer_load_dword v200, off, s[40:43], 0 offset:1096 ; 4-byte Folded Reload
	;; [unrolled: 1-line block ×4, first 2 shown]
	s_waitcnt vmcnt(0) lgkmcnt(14)
	v_mul_f64 v[197:198], v[201:202], v[194:195]
	v_mov_b32_e32 v212, v202
	v_mov_b32_e32 v211, v201
	;; [unrolled: 1-line block ×4, first 2 shown]
	v_fma_f64 v[222:223], v[199:200], v[192:193], v[197:198]
	v_mul_f64 v[192:193], v[201:202], v[192:193]
	v_fma_f64 v[224:225], v[199:200], v[194:195], -v[192:193]
	buffer_load_dword v197, off, s[40:43], 0 offset:1124 ; 4-byte Folded Reload
	buffer_load_dword v198, off, s[40:43], 0 offset:1128 ; 4-byte Folded Reload
	;; [unrolled: 1-line block ×4, first 2 shown]
	s_waitcnt vmcnt(0)
	v_mul_f64 v[192:193], v[199:200], v[190:191]
	v_mov_b32_e32 v204, v200
	v_mov_b32_e32 v203, v199
	;; [unrolled: 1-line block ×4, first 2 shown]
	v_fma_f64 v[226:227], v[197:198], v[188:189], v[192:193]
	v_mul_f64 v[188:189], v[199:200], v[188:189]
	v_fma_f64 v[228:229], v[197:198], v[190:191], -v[188:189]
	buffer_load_dword v190, off, s[40:43], 0 offset:1156 ; 4-byte Folded Reload
	buffer_load_dword v191, off, s[40:43], 0 offset:1160 ; 4-byte Folded Reload
	buffer_load_dword v192, off, s[40:43], 0 offset:1164 ; 4-byte Folded Reload
	buffer_load_dword v193, off, s[40:43], 0 offset:1168 ; 4-byte Folded Reload
	s_waitcnt vmcnt(0)
	v_mul_f64 v[188:189], v[192:193], v[186:187]
	v_fma_f64 v[230:231], v[190:191], v[184:185], v[188:189]
	v_mul_f64 v[184:185], v[192:193], v[184:185]
	v_fma_f64 v[232:233], v[190:191], v[186:187], -v[184:185]
	buffer_load_dword v186, off, s[40:43], 0 offset:1204 ; 4-byte Folded Reload
	buffer_load_dword v187, off, s[40:43], 0 offset:1208 ; 4-byte Folded Reload
	;; [unrolled: 1-line block ×4, first 2 shown]
	s_waitcnt vmcnt(0)
	v_mul_f64 v[184:185], v[188:189], v[182:183]
	v_mov_b32_e32 v200, v189
	v_mov_b32_e32 v199, v188
	;; [unrolled: 1-line block ×4, first 2 shown]
	v_fma_f64 v[234:235], v[186:187], v[180:181], v[184:185]
	v_mul_f64 v[180:181], v[188:189], v[180:181]
	v_fma_f64 v[236:237], v[186:187], v[182:183], -v[180:181]
	buffer_load_dword v182, off, s[40:43], 0 offset:1236 ; 4-byte Folded Reload
	buffer_load_dword v183, off, s[40:43], 0 offset:1240 ; 4-byte Folded Reload
	;; [unrolled: 1-line block ×4, first 2 shown]
	s_waitcnt vmcnt(0)
	v_mul_f64 v[180:181], v[184:185], v[178:179]
	v_mov_b32_e32 v208, v185
	v_mov_b32_e32 v207, v184
	;; [unrolled: 1-line block ×4, first 2 shown]
	v_fma_f64 v[238:239], v[182:183], v[176:177], v[180:181]
	v_mul_f64 v[176:177], v[184:185], v[176:177]
	v_fma_f64 v[240:241], v[182:183], v[178:179], -v[176:177]
	buffer_load_dword v178, off, s[40:43], 0 offset:1268 ; 4-byte Folded Reload
	buffer_load_dword v179, off, s[40:43], 0 offset:1272 ; 4-byte Folded Reload
	;; [unrolled: 1-line block ×4, first 2 shown]
	s_waitcnt vmcnt(0)
	v_mul_f64 v[176:177], v[180:181], v[174:175]
	v_fma_f64 v[242:243], v[178:179], v[172:173], v[176:177]
	v_mul_f64 v[172:173], v[180:181], v[172:173]
	v_fma_f64 v[244:245], v[178:179], v[174:175], -v[172:173]
	v_mul_f64 v[172:173], v[211:212], v[170:171]
	v_mov_b32_e32 v174, v178
	v_mov_b32_e32 v175, v179
	;; [unrolled: 1-line block ×4, first 2 shown]
	v_fma_f64 v[180:181], v[209:210], v[168:169], v[172:173]
	v_mul_f64 v[168:169], v[211:212], v[168:169]
	v_fma_f64 v[182:183], v[209:210], v[170:171], -v[168:169]
	v_mul_f64 v[168:169], v[203:204], v[166:167]
	v_fma_f64 v[184:185], v[201:202], v[164:165], v[168:169]
	v_mul_f64 v[164:165], v[203:204], v[164:165]
	v_fma_f64 v[186:187], v[201:202], v[166:167], -v[164:165]
	v_mul_f64 v[164:165], v[192:193], v[162:163]
	;; [unrolled: 4-line block ×5, first 2 shown]
	v_fma_f64 v[216:217], v[174:175], v[148:149], v[152:153]
	v_mul_f64 v[148:149], v[176:177], v[148:149]
	v_fma_f64 v[218:219], v[174:175], v[150:151], -v[148:149]
	buffer_load_dword v150, off, s[40:43], 0 offset:892 ; 4-byte Folded Reload
	buffer_load_dword v151, off, s[40:43], 0 offset:896 ; 4-byte Folded Reload
	buffer_load_dword v152, off, s[40:43], 0 offset:900 ; 4-byte Folded Reload
	buffer_load_dword v153, off, s[40:43], 0 offset:904 ; 4-byte Folded Reload
	s_waitcnt vmcnt(0)
	v_mul_f64 v[148:149], v[152:153], v[146:147]
	v_fma_f64 v[168:169], v[150:151], v[144:145], v[148:149]
	v_mul_f64 v[144:145], v[152:153], v[144:145]
	v_fma_f64 v[170:171], v[150:151], v[146:147], -v[144:145]
	buffer_load_dword v146, off, s[40:43], 0 offset:908 ; 4-byte Folded Reload
	buffer_load_dword v147, off, s[40:43], 0 offset:912 ; 4-byte Folded Reload
	buffer_load_dword v148, off, s[40:43], 0 offset:916 ; 4-byte Folded Reload
	buffer_load_dword v149, off, s[40:43], 0 offset:920 ; 4-byte Folded Reload
	s_waitcnt vmcnt(0)
	v_mul_f64 v[144:145], v[148:149], v[142:143]
	;; [unrolled: 9-line block ×3, first 2 shown]
	v_fma_f64 v[140:141], v[142:143], v[136:137], v[140:141]
	v_mul_f64 v[136:137], v[144:145], v[136:137]
	buffer_load_dword v144, off, s[40:43], 0 offset:948 ; 4-byte Folded Reload
	buffer_load_dword v145, off, s[40:43], 0 offset:952 ; 4-byte Folded Reload
	;; [unrolled: 1-line block ×4, first 2 shown]
	v_fma_f64 v[142:143], v[142:143], v[138:139], -v[136:137]
	s_waitcnt vmcnt(0)
	v_mul_f64 v[136:137], v[146:147], v[134:135]
	v_fma_f64 v[164:165], v[144:145], v[132:133], v[136:137]
	v_mul_f64 v[132:133], v[146:147], v[132:133]
	v_fma_f64 v[166:167], v[144:145], v[134:135], -v[132:133]
	buffer_load_dword v134, off, s[40:43], 0 offset:996 ; 4-byte Folded Reload
	buffer_load_dword v135, off, s[40:43], 0 offset:1000 ; 4-byte Folded Reload
	buffer_load_dword v136, off, s[40:43], 0 offset:1004 ; 4-byte Folded Reload
	buffer_load_dword v137, off, s[40:43], 0 offset:1008 ; 4-byte Folded Reload
	s_waitcnt vmcnt(0)
	v_mul_f64 v[132:133], v[136:137], v[130:131]
	v_fma_f64 v[172:173], v[134:135], v[128:129], v[132:133]
	v_mul_f64 v[128:129], v[136:137], v[128:129]
	v_fma_f64 v[174:175], v[134:135], v[130:131], -v[128:129]
	buffer_load_dword v130, off, s[40:43], 0 offset:1012 ; 4-byte Folded Reload
	buffer_load_dword v131, off, s[40:43], 0 offset:1016 ; 4-byte Folded Reload
	buffer_load_dword v132, off, s[40:43], 0 offset:1020 ; 4-byte Folded Reload
	buffer_load_dword v133, off, s[40:43], 0 offset:1024 ; 4-byte Folded Reload
	;; [unrolled: 9-line block ×8, first 2 shown]
	v_add_f64 v[110:111], v[194:195], -v[190:191]
	s_waitcnt vmcnt(0)
	v_mul_f64 v[104:105], v[108:109], v[102:103]
	v_fma_f64 v[156:157], v[106:107], v[100:101], v[104:105]
	v_mul_f64 v[100:101], v[108:109], v[100:101]
	v_add_f64 v[108:109], v[192:193], -v[188:189]
	v_fma_f64 v[158:159], v[106:107], v[102:103], -v[100:101]
	buffer_load_dword v102, off, s[40:43], 0 offset:1576 ; 4-byte Folded Reload
	buffer_load_dword v103, off, s[40:43], 0 offset:1580 ; 4-byte Folded Reload
	;; [unrolled: 1-line block ×4, first 2 shown]
	s_waitcnt vmcnt(0)
	v_mul_f64 v[100:101], v[104:105], v[98:99]
	v_fma_f64 v[100:101], v[102:103], v[96:97], v[100:101]
	v_mul_f64 v[96:97], v[104:105], v[96:97]
	buffer_load_dword v104, off, s[40:43], 0 offset:1608 ; 4-byte Folded Reload
	buffer_load_dword v105, off, s[40:43], 0 offset:1612 ; 4-byte Folded Reload
	;; [unrolled: 1-line block ×4, first 2 shown]
	v_fma_f64 v[102:103], v[102:103], v[98:99], -v[96:97]
	s_waitcnt vmcnt(0)
	v_mul_f64 v[96:97], v[106:107], v[94:95]
	v_fma_f64 v[112:113], v[104:105], v[92:93], v[96:97]
	v_mul_f64 v[92:93], v[106:107], v[92:93]
	v_add_f64 v[106:107], v[190:191], v[194:195]
	v_fma_f64 v[114:115], v[104:105], v[94:95], -v[92:93]
	buffer_load_dword v94, off, s[40:43], 0 offset:1628 ; 4-byte Folded Reload
	buffer_load_dword v95, off, s[40:43], 0 offset:1632 ; 4-byte Folded Reload
	buffer_load_dword v96, off, s[40:43], 0 offset:1636 ; 4-byte Folded Reload
	buffer_load_dword v97, off, s[40:43], 0 offset:1640 ; 4-byte Folded Reload
	v_add_f64 v[104:105], v[188:189], v[192:193]
	s_waitcnt vmcnt(0)
	v_mul_f64 v[92:93], v[96:97], v[90:91]
	v_fma_f64 v[116:117], v[94:95], v[88:89], v[92:93]
	v_mul_f64 v[88:89], v[96:97], v[88:89]
	v_fma_f64 v[118:119], v[94:95], v[90:91], -v[88:89]
	buffer_load_dword v90, off, s[40:43], 0 offset:1644 ; 4-byte Folded Reload
	buffer_load_dword v91, off, s[40:43], 0 offset:1648 ; 4-byte Folded Reload
	buffer_load_dword v92, off, s[40:43], 0 offset:1652 ; 4-byte Folded Reload
	buffer_load_dword v93, off, s[40:43], 0 offset:1656 ; 4-byte Folded Reload
	s_waitcnt vmcnt(0)
	v_mul_f64 v[88:89], v[92:93], v[86:87]
	v_fma_f64 v[120:121], v[90:91], v[84:85], v[88:89]
	v_mul_f64 v[84:85], v[92:93], v[84:85]
	v_fma_f64 v[122:123], v[90:91], v[86:87], -v[84:85]
	buffer_load_dword v86, off, s[40:43], 0 offset:1692 ; 4-byte Folded Reload
	buffer_load_dword v87, off, s[40:43], 0 offset:1696 ; 4-byte Folded Reload
	buffer_load_dword v88, off, s[40:43], 0 offset:1700 ; 4-byte Folded Reload
	buffer_load_dword v89, off, s[40:43], 0 offset:1704 ; 4-byte Folded Reload
	s_waitcnt vmcnt(0)
	v_mul_f64 v[84:85], v[88:89], v[82:83]
	v_fma_f64 v[124:125], v[86:87], v[80:81], v[84:85]
	v_mul_f64 v[80:81], v[88:89], v[80:81]
	v_fma_f64 v[126:127], v[86:87], v[82:83], -v[80:81]
	buffer_load_dword v82, off, s[40:43], 0 offset:1708 ; 4-byte Folded Reload
	buffer_load_dword v83, off, s[40:43], 0 offset:1712 ; 4-byte Folded Reload
	buffer_load_dword v84, off, s[40:43], 0 offset:1716 ; 4-byte Folded Reload
	buffer_load_dword v85, off, s[40:43], 0 offset:1720 ; 4-byte Folded Reload
	s_waitcnt vmcnt(0)
	v_mul_f64 v[80:81], v[84:85], v[78:79]
	v_fma_f64 v[128:129], v[82:83], v[76:77], v[80:81]
	v_mul_f64 v[76:77], v[84:85], v[76:77]
	v_fma_f64 v[130:131], v[82:83], v[78:79], -v[76:77]
	buffer_load_dword v82, off, s[40:43], 0 offset:1868 ; 4-byte Folded Reload
	buffer_load_dword v83, off, s[40:43], 0 offset:1872 ; 4-byte Folded Reload
	buffer_load_dword v84, off, s[40:43], 0 offset:1876 ; 4-byte Folded Reload
	buffer_load_dword v85, off, s[40:43], 0 offset:1880 ; 4-byte Folded Reload
	s_waitcnt vmcnt(0) lgkmcnt(12)
	v_mul_f64 v[76:77], v[84:85], v[74:75]
	v_fma_f64 v[80:81], v[82:83], v[72:73], v[76:77]
	v_mul_f64 v[72:73], v[84:85], v[72:73]
	v_fma_f64 v[82:83], v[82:83], v[74:75], -v[72:73]
	buffer_load_dword v74, off, s[40:43], 0 offset:1884 ; 4-byte Folded Reload
	buffer_load_dword v75, off, s[40:43], 0 offset:1888 ; 4-byte Folded Reload
	buffer_load_dword v76, off, s[40:43], 0 offset:1892 ; 4-byte Folded Reload
	buffer_load_dword v77, off, s[40:43], 0 offset:1896 ; 4-byte Folded Reload
	s_waitcnt vmcnt(0) lgkmcnt(11)
	v_mul_f64 v[72:73], v[76:77], v[70:71]
	v_fma_f64 v[84:85], v[74:75], v[68:69], v[72:73]
	v_mul_f64 v[68:69], v[76:77], v[68:69]
	v_fma_f64 v[68:69], v[74:75], v[70:71], -v[68:69]
	buffer_load_dword v72, off, s[40:43], 0 offset:1916 ; 4-byte Folded Reload
	buffer_load_dword v73, off, s[40:43], 0 offset:1920 ; 4-byte Folded Reload
	buffer_load_dword v74, off, s[40:43], 0 offset:1924 ; 4-byte Folded Reload
	buffer_load_dword v75, off, s[40:43], 0 offset:1928 ; 4-byte Folded Reload
	;; [unrolled: 9-line block ×6, first 2 shown]
	buffer_load_dword v58, off, s[40:43], 0 offset:2180 ; 4-byte Folded Reload
	buffer_load_dword v59, off, s[40:43], 0 offset:2184 ; 4-byte Folded Reload
	;; [unrolled: 1-line block ×4, first 2 shown]
	s_waitcnt vmcnt(4) lgkmcnt(5)
	v_mul_f64 v[52:53], v[56:57], v[42:43]
	v_fma_f64 v[52:53], v[54:55], v[40:41], v[52:53]
	v_mul_f64 v[40:41], v[56:57], v[40:41]
	v_fma_f64 v[54:55], v[54:55], v[42:43], -v[40:41]
	s_waitcnt vmcnt(0) lgkmcnt(4)
	v_mul_f64 v[40:41], v[60:61], v[38:39]
	v_add_f64 v[42:43], v[236:237], -v[232:233]
	v_fma_f64 v[56:57], v[58:59], v[36:37], v[40:41]
	v_mul_f64 v[36:37], v[60:61], v[36:37]
	v_fma_f64 v[58:59], v[58:59], v[38:39], -v[36:37]
	buffer_load_dword v38, off, s[40:43], 0 offset:2196 ; 4-byte Folded Reload
	buffer_load_dword v39, off, s[40:43], 0 offset:2200 ; 4-byte Folded Reload
	;; [unrolled: 1-line block ×4, first 2 shown]
	s_waitcnt vmcnt(0) lgkmcnt(3)
	v_mul_f64 v[36:37], v[40:41], v[34:35]
	v_fma_f64 v[220:221], v[38:39], v[32:33], v[36:37]
	v_mul_f64 v[32:33], v[40:41], v[32:33]
	v_add_f64 v[40:41], v[234:235], -v[230:231]
	v_fma_f64 v[198:199], v[38:39], v[34:35], -v[32:33]
	buffer_load_dword v34, off, s[40:43], 0 offset:2212 ; 4-byte Folded Reload
	buffer_load_dword v35, off, s[40:43], 0 offset:2216 ; 4-byte Folded Reload
	;; [unrolled: 1-line block ×4, first 2 shown]
	v_add_f64 v[38:39], v[232:233], v[236:237]
	s_waitcnt vmcnt(0) lgkmcnt(2)
	v_mul_f64 v[32:33], v[36:37], v[30:31]
	v_fma_f64 v[200:201], v[34:35], v[28:29], v[32:33]
	v_mul_f64 v[28:29], v[36:37], v[28:29]
	v_add_f64 v[36:37], v[230:231], v[234:235]
	v_fma_f64 v[202:203], v[34:35], v[30:31], -v[28:29]
	buffer_load_dword v30, off, s[40:43], 0 offset:2296 ; 4-byte Folded Reload
	buffer_load_dword v31, off, s[40:43], 0 offset:2300 ; 4-byte Folded Reload
	;; [unrolled: 1-line block ×4, first 2 shown]
	v_add_f64 v[34:35], v[228:229], -v[240:241]
	v_add_f64 v[74:75], v[42:43], v[34:35]
	v_add_f64 v[78:79], v[42:43], -v[34:35]
	s_waitcnt vmcnt(0) lgkmcnt(1)
	v_mul_f64 v[28:29], v[32:33], v[22:23]
	v_fma_f64 v[204:205], v[30:31], v[20:21], v[28:29]
	v_mul_f64 v[20:21], v[32:33], v[20:21]
	v_add_f64 v[32:33], v[226:227], -v[238:239]
	v_fma_f64 v[206:207], v[30:31], v[22:23], -v[20:21]
	buffer_load_dword v28, off, s[40:43], 0 offset:2312 ; 4-byte Folded Reload
	buffer_load_dword v29, off, s[40:43], 0 offset:2316 ; 4-byte Folded Reload
	;; [unrolled: 1-line block ×4, first 2 shown]
	v_add_f64 v[22:23], v[224:225], -v[244:245]
	v_add_f64 v[72:73], v[40:41], v[32:33]
	v_add_f64 v[76:77], v[40:41], -v[32:33]
	s_waitcnt lgkmcnt(0)
	; wave barrier
	s_waitcnt lgkmcnt(0)
	v_add_f64 v[34:35], v[34:35], -v[22:23]
	v_add_f64 v[42:43], v[22:23], -v[42:43]
	v_add_f64 v[22:23], v[74:75], v[22:23]
	v_mul_f64 v[74:75], v[78:79], s[20:21]
	v_mul_f64 v[78:79], v[34:35], s[24:25]
	v_fma_f64 v[34:35], v[34:35], s[4:5], -v[74:75]
	s_waitcnt vmcnt(0)
	v_mul_f64 v[20:21], v[30:31], v[18:19]
	v_fma_f64 v[208:209], v[28:29], v[16:17], v[20:21]
	v_mul_f64 v[16:17], v[30:31], v[16:17]
	v_add_f64 v[30:31], v[228:229], v[240:241]
	v_add_f64 v[20:21], v[222:223], -v[242:243]
	v_fma_f64 v[210:211], v[28:29], v[18:19], -v[16:17]
	v_add_f64 v[16:17], v[222:223], v[242:243]
	v_add_f64 v[18:19], v[224:225], v[244:245]
	;; [unrolled: 1-line block ×3, first 2 shown]
	v_add_f64 v[32:33], v[32:33], -v[20:21]
	v_add_f64 v[40:41], v[20:21], -v[40:41]
	v_add_f64 v[20:21], v[72:73], v[20:21]
	v_mul_f64 v[72:73], v[76:77], s[20:21]
	v_add_f64 v[62:63], v[30:31], v[18:19]
	v_add_f64 v[60:61], v[28:29], v[16:17]
	v_add_f64 v[64:65], v[28:29], -v[16:17]
	v_add_f64 v[66:67], v[30:31], -v[18:19]
	;; [unrolled: 1-line block ×6, first 2 shown]
	v_add_f64 v[38:39], v[38:39], v[62:63]
	v_add_f64 v[36:37], v[36:37], v[60:61]
	v_mul_f64 v[76:77], v[32:33], s[24:25]
	v_fma_f64 v[32:33], v[32:33], s[4:5], -v[72:73]
	v_mul_f64 v[16:17], v[16:17], s[26:27]
	v_mul_f64 v[18:19], v[18:19], s[26:27]
	;; [unrolled: 1-line block ×4, first 2 shown]
	v_add_f64 v[10:11], v[10:11], v[38:39]
	v_add_f64 v[8:9], v[8:9], v[36:37]
	v_fma_f64 v[28:29], v[28:29], s[6:7], v[16:17]
	v_fma_f64 v[30:31], v[30:31], s[6:7], v[18:19]
	v_fma_f64 v[60:61], v[64:65], s[14:15], -v[60:61]
	v_fma_f64 v[62:63], v[66:67], s[14:15], -v[62:63]
	v_fma_f64 v[38:39], v[38:39], s[18:19], v[10:11]
	v_fma_f64 v[36:37], v[36:37], s[18:19], v[8:9]
	v_fma_f64 v[16:17], v[64:65], s[16:17], -v[16:17]
	v_fma_f64 v[18:19], v[66:67], s[16:17], -v[18:19]
	v_fma_f64 v[64:65], v[40:41], s[22:23], v[72:73]
	v_fma_f64 v[66:67], v[42:43], s[22:23], v[74:75]
	v_fma_f64 v[40:41], v[40:41], s[8:9], v[76:77]
	v_fma_f64 v[42:43], v[42:43], s[8:9], v[78:79]
	v_add_f64 v[74:75], v[30:31], v[38:39]
	v_add_f64 v[72:73], v[28:29], v[36:37]
	;; [unrolled: 1-line block ×6, first 2 shown]
	v_fma_f64 v[64:65], v[20:21], s[2:3], v[64:65]
	v_fma_f64 v[66:67], v[22:23], s[2:3], v[66:67]
	;; [unrolled: 1-line block ×6, first 2 shown]
	v_add_f64 v[78:79], v[186:187], -v[214:215]
	v_add_f64 v[22:23], v[74:75], -v[64:65]
	v_add_f64 v[20:21], v[66:67], v[72:73]
	v_add_f64 v[30:31], v[76:77], v[62:63]
	v_add_f64 v[28:29], v[60:61], -v[32:33]
	v_add_f64 v[18:19], v[38:39], -v[40:41]
	v_add_f64 v[16:17], v[42:43], v[36:37]
	v_add_f64 v[32:33], v[32:33], v[60:61]
	v_add_f64 v[34:35], v[62:63], -v[76:77]
	v_add_f64 v[36:37], v[36:37], -v[42:43]
	v_add_f64 v[38:39], v[40:41], v[38:39]
	v_add_f64 v[40:41], v[72:73], -v[66:67]
	v_add_f64 v[42:43], v[64:65], v[74:75]
	v_add_f64 v[60:61], v[180:181], v[216:217]
	;; [unrolled: 1-line block ×5, first 2 shown]
	v_add_f64 v[64:65], v[180:181], -v[216:217]
	v_add_f64 v[66:67], v[182:183], -v[218:219]
	;; [unrolled: 1-line block ×3, first 2 shown]
	v_add_f64 v[190:191], v[110:111], v[78:79]
	v_add_f64 v[194:195], v[110:111], -v[78:79]
	v_add_f64 v[180:181], v[72:73], v[60:61]
	v_add_f64 v[182:183], v[74:75], v[62:63]
	v_add_f64 v[184:185], v[72:73], -v[60:61]
	v_add_f64 v[186:187], v[74:75], -v[62:63]
	;; [unrolled: 1-line block ×6, first 2 shown]
	v_add_f64 v[188:189], v[108:109], v[76:77]
	v_add_f64 v[192:193], v[108:109], -v[76:77]
	v_add_f64 v[76:77], v[76:77], -v[64:65]
	;; [unrolled: 1-line block ×3, first 2 shown]
	v_add_f64 v[104:105], v[104:105], v[180:181]
	v_add_f64 v[106:107], v[106:107], v[182:183]
	v_add_f64 v[108:109], v[64:65], -v[108:109]
	v_add_f64 v[110:111], v[66:67], -v[110:111]
	v_add_f64 v[64:65], v[188:189], v[64:65]
	v_add_f64 v[66:67], v[190:191], v[66:67]
	v_mul_f64 v[60:61], v[60:61], s[26:27]
	v_mul_f64 v[62:63], v[62:63], s[26:27]
	v_add_f64 v[44:45], v[44:45], v[104:105]
	v_add_f64 v[46:47], v[46:47], v[106:107]
	v_mul_f64 v[180:181], v[72:73], s[6:7]
	v_mul_f64 v[182:183], v[74:75], s[6:7]
	;; [unrolled: 1-line block ×6, first 2 shown]
	v_fma_f64 v[104:105], v[104:105], s[18:19], v[44:45]
	v_fma_f64 v[106:107], v[106:107], s[18:19], v[46:47]
	;; [unrolled: 1-line block ×4, first 2 shown]
	v_fma_f64 v[180:181], v[184:185], s[14:15], -v[180:181]
	v_fma_f64 v[182:183], v[186:187], s[14:15], -v[182:183]
	;; [unrolled: 1-line block ×4, first 2 shown]
	v_fma_f64 v[184:185], v[108:109], s[22:23], v[188:189]
	v_fma_f64 v[186:187], v[110:111], s[22:23], v[190:191]
	v_fma_f64 v[76:77], v[76:77], s[4:5], -v[188:189]
	v_fma_f64 v[78:79], v[78:79], s[4:5], -v[190:191]
	v_fma_f64 v[108:109], v[108:109], s[8:9], v[192:193]
	v_fma_f64 v[110:111], v[110:111], s[8:9], v[194:195]
	v_add_f64 v[188:189], v[72:73], v[104:105]
	v_add_f64 v[190:191], v[74:75], v[106:107]
	;; [unrolled: 1-line block ×6, first 2 shown]
	v_fma_f64 v[184:185], v[64:65], s[2:3], v[184:185]
	v_fma_f64 v[186:187], v[66:67], s[2:3], v[186:187]
	;; [unrolled: 1-line block ×6, first 2 shown]
	v_add_f64 v[66:67], v[190:191], -v[184:185]
	v_add_f64 v[64:65], v[186:187], v[188:189]
	v_add_f64 v[74:75], v[192:193], v[182:183]
	v_add_f64 v[72:73], v[180:181], -v[76:77]
	v_add_f64 v[62:63], v[106:107], -v[108:109]
	v_add_f64 v[60:61], v[110:111], v[104:105]
	v_add_f64 v[76:77], v[76:77], v[180:181]
	v_add_f64 v[78:79], v[182:183], -v[192:193]
	v_add_f64 v[104:105], v[104:105], -v[110:111]
	v_add_f64 v[106:107], v[108:109], v[106:107]
	v_add_f64 v[108:109], v[188:189], -v[186:187]
	v_add_f64 v[110:111], v[184:185], v[190:191]
	ds_write_b128 v196, v[8:11]
	ds_write_b128 v196, v[20:23] offset:784
	ds_write_b128 v196, v[16:19] offset:1568
	;; [unrolled: 1-line block ×13, first 2 shown]
	buffer_load_dword v8, off, s[40:43], 0 offset:2828 ; 4-byte Folded Reload
	v_add_f64 v[180:181], v[168:169], v[176:177]
	v_add_f64 v[182:183], v[170:171], v[178:179]
	v_add_f64 v[168:169], v[168:169], -v[176:177]
	v_add_f64 v[170:171], v[170:171], -v[178:179]
	v_add_f64 v[176:177], v[160:161], v[172:173]
	v_add_f64 v[178:179], v[162:163], v[174:175]
	v_add_f64 v[160:161], v[160:161], -v[172:173]
	v_add_f64 v[162:163], v[162:163], -v[174:175]
	;; [unrolled: 4-line block ×4, first 2 shown]
	v_add_f64 v[180:181], v[180:181], -v[172:173]
	v_add_f64 v[182:183], v[182:183], -v[174:175]
	;; [unrolled: 1-line block ×6, first 2 shown]
	v_add_f64 v[164:165], v[172:173], v[164:165]
	v_add_f64 v[166:167], v[174:175], v[166:167]
	;; [unrolled: 1-line block ×4, first 2 shown]
	v_add_f64 v[160:161], v[160:161], -v[168:169]
	v_add_f64 v[162:163], v[162:163], -v[170:171]
	v_add_f64 v[212:213], v[168:169], -v[140:141]
	v_add_f64 v[214:215], v[170:171], -v[142:143]
	v_add_f64 v[140:141], v[48:49], v[164:165]
	v_add_f64 v[142:143], v[50:51], v[166:167]
	v_mul_f64 v[48:49], v[180:181], s[26:27]
	v_mul_f64 v[50:51], v[182:183], s[26:27]
	;; [unrolled: 1-line block ×6, first 2 shown]
	v_add_f64 v[168:169], v[188:189], v[168:169]
	v_add_f64 v[170:171], v[190:191], v[170:171]
	v_mul_f64 v[188:189], v[160:161], s[24:25]
	v_mul_f64 v[190:191], v[162:163], s[24:25]
	v_fma_f64 v[164:165], v[164:165], s[18:19], v[140:141]
	v_fma_f64 v[166:167], v[166:167], s[18:19], v[142:143]
	;; [unrolled: 1-line block ×4, first 2 shown]
	v_fma_f64 v[172:173], v[184:185], s[14:15], -v[172:173]
	v_fma_f64 v[174:175], v[186:187], s[14:15], -v[174:175]
	;; [unrolled: 1-line block ×4, first 2 shown]
	v_fma_f64 v[184:185], v[212:213], s[22:23], v[180:181]
	v_fma_f64 v[186:187], v[214:215], s[22:23], v[182:183]
	v_fma_f64 v[160:161], v[160:161], s[4:5], -v[180:181]
	v_fma_f64 v[162:163], v[162:163], s[4:5], -v[182:183]
	v_fma_f64 v[180:181], v[212:213], s[8:9], v[188:189]
	v_fma_f64 v[182:183], v[214:215], s[8:9], v[190:191]
	v_add_f64 v[192:193], v[176:177], v[164:165]
	v_add_f64 v[194:195], v[178:179], v[166:167]
	;; [unrolled: 1-line block ×6, first 2 shown]
	v_fma_f64 v[164:165], v[168:169], s[2:3], v[184:185]
	v_fma_f64 v[166:167], v[170:171], s[2:3], v[186:187]
	v_fma_f64 v[160:161], v[168:169], s[2:3], v[160:161]
	v_fma_f64 v[162:163], v[170:171], s[2:3], v[162:163]
	v_fma_f64 v[168:169], v[168:169], s[2:3], v[180:181]
	v_fma_f64 v[170:171], v[170:171], s[2:3], v[182:183]
	v_add_f64 v[178:179], v[194:195], -v[164:165]
	v_add_f64 v[176:177], v[166:167], v[192:193]
	v_add_f64 v[182:183], v[160:161], v[190:191]
	v_add_f64 v[180:181], v[188:189], -v[162:163]
	v_add_f64 v[174:175], v[50:51], -v[168:169]
	v_add_f64 v[172:173], v[170:171], v[48:49]
	v_add_f64 v[184:185], v[162:163], v[188:189]
	v_add_f64 v[186:187], v[190:191], -v[160:161]
	v_add_f64 v[188:189], v[48:49], -v[170:171]
	v_add_f64 v[190:191], v[168:169], v[50:51]
	v_add_f64 v[192:193], v[192:193], -v[166:167]
	v_add_f64 v[194:195], v[164:165], v[194:195]
	s_waitcnt vmcnt(0)
	ds_write_b128 v8, v[140:143] offset:10976
	ds_write_b128 v8, v[176:179] offset:11760
	;; [unrolled: 1-line block ×7, first 2 shown]
	buffer_load_dword v8, off, s[40:43], 0 offset:2592 ; 4-byte Folded Reload
	v_add_f64 v[48:49], v[132:133], v[156:157]
	v_add_f64 v[50:51], v[134:135], v[158:159]
	v_add_f64 v[132:133], v[132:133], -v[156:157]
	v_add_f64 v[134:135], v[134:135], -v[158:159]
	v_add_f64 v[156:157], v[136:137], v[152:153]
	v_add_f64 v[158:159], v[138:139], v[154:155]
	v_add_f64 v[136:137], v[136:137], -v[152:153]
	v_add_f64 v[138:139], v[138:139], -v[154:155]
	;; [unrolled: 4-line block ×4, first 2 shown]
	v_add_f64 v[48:49], v[48:49], -v[152:153]
	v_add_f64 v[50:51], v[50:51], -v[154:155]
	;; [unrolled: 1-line block ×6, first 2 shown]
	v_add_f64 v[148:149], v[152:153], v[148:149]
	v_add_f64 v[150:151], v[154:155], v[150:151]
	;; [unrolled: 1-line block ×4, first 2 shown]
	v_add_f64 v[136:137], v[136:137], -v[132:133]
	v_add_f64 v[138:139], v[138:139], -v[134:135]
	;; [unrolled: 1-line block ×4, first 2 shown]
	v_add_f64 v[144:145], v[24:25], v[148:149]
	v_add_f64 v[146:147], v[26:27], v[150:151]
	v_mul_f64 v[24:25], v[48:49], s[26:27]
	v_mul_f64 v[26:27], v[50:51], s[26:27]
	;; [unrolled: 1-line block ×6, first 2 shown]
	v_add_f64 v[132:133], v[164:165], v[132:133]
	v_add_f64 v[134:135], v[166:167], v[134:135]
	v_mul_f64 v[164:165], v[136:137], s[24:25]
	v_mul_f64 v[166:167], v[138:139], s[24:25]
	v_fma_f64 v[148:149], v[148:149], s[18:19], v[144:145]
	v_fma_f64 v[150:151], v[150:151], s[18:19], v[146:147]
	;; [unrolled: 1-line block ×4, first 2 shown]
	v_fma_f64 v[48:49], v[160:161], s[14:15], -v[48:49]
	v_fma_f64 v[50:51], v[162:163], s[14:15], -v[50:51]
	;; [unrolled: 1-line block ×4, first 2 shown]
	v_fma_f64 v[160:161], v[212:213], s[22:23], v[152:153]
	v_fma_f64 v[162:163], v[214:215], s[22:23], v[154:155]
	v_fma_f64 v[136:137], v[136:137], s[4:5], -v[152:153]
	v_fma_f64 v[138:139], v[138:139], s[4:5], -v[154:155]
	v_fma_f64 v[152:153], v[212:213], s[8:9], v[164:165]
	v_fma_f64 v[154:155], v[214:215], s[8:9], v[166:167]
	v_add_f64 v[212:213], v[156:157], v[148:149]
	v_add_f64 v[214:215], v[158:159], v[150:151]
	;; [unrolled: 1-line block ×6, first 2 shown]
	v_fma_f64 v[150:151], v[132:133], s[2:3], v[160:161]
	v_fma_f64 v[148:149], v[134:135], s[2:3], v[162:163]
	;; [unrolled: 1-line block ×6, first 2 shown]
	v_add_f64 v[170:171], v[214:215], -v[150:151]
	v_add_f64 v[168:169], v[148:149], v[212:213]
	v_add_f64 v[162:163], v[136:137], v[50:51]
	v_add_f64 v[160:161], v[48:49], -v[138:139]
	v_add_f64 v[166:167], v[26:27], -v[132:133]
	v_add_f64 v[164:165], v[134:135], v[24:25]
	v_add_f64 v[156:157], v[138:139], v[48:49]
	v_add_f64 v[158:159], v[50:51], -v[136:137]
	v_add_f64 v[152:153], v[24:25], -v[134:135]
	v_add_f64 v[154:155], v[132:133], v[26:27]
	v_add_f64 v[148:149], v[212:213], -v[148:149]
	v_add_f64 v[150:151], v[150:151], v[214:215]
	s_waitcnt vmcnt(0)
	ds_write_b128 v8, v[144:147] offset:16464
	ds_write_b128 v8, v[168:171] offset:17248
	;; [unrolled: 1-line block ×7, first 2 shown]
	buffer_load_dword v8, off, s[40:43], 0 offset:2160 ; 4-byte Folded Reload
	v_add_f64 v[24:25], v[100:101], v[128:129]
	v_add_f64 v[26:27], v[102:103], v[130:131]
	v_add_f64 v[48:49], v[100:101], -v[128:129]
	v_add_f64 v[50:51], v[102:103], -v[130:131]
	v_add_f64 v[100:101], v[112:113], v[124:125]
	v_add_f64 v[102:103], v[114:115], v[126:127]
	v_add_f64 v[112:113], v[112:113], -v[124:125]
	v_add_f64 v[114:115], v[114:115], -v[126:127]
	;; [unrolled: 4-line block ×4, first 2 shown]
	v_add_f64 v[24:25], v[24:25], -v[124:125]
	v_add_f64 v[26:27], v[26:27], -v[126:127]
	;; [unrolled: 1-line block ×6, first 2 shown]
	v_add_f64 v[120:121], v[124:125], v[120:121]
	v_add_f64 v[122:123], v[126:127], v[122:123]
	;; [unrolled: 1-line block ×4, first 2 shown]
	v_add_f64 v[212:213], v[112:113], -v[48:49]
	v_add_f64 v[214:215], v[114:115], -v[50:51]
	;; [unrolled: 1-line block ×4, first 2 shown]
	v_add_f64 v[112:113], v[12:13], v[120:121]
	v_add_f64 v[114:115], v[14:15], v[122:123]
	v_mul_f64 v[12:13], v[24:25], s[26:27]
	v_mul_f64 v[14:15], v[26:27], s[26:27]
	;; [unrolled: 1-line block ×6, first 2 shown]
	v_add_f64 v[48:49], v[132:133], v[48:49]
	v_add_f64 v[50:51], v[134:135], v[50:51]
	v_mul_f64 v[132:133], v[212:213], s[24:25]
	v_mul_f64 v[134:135], v[214:215], s[24:25]
	v_fma_f64 v[120:121], v[120:121], s[18:19], v[112:113]
	v_fma_f64 v[122:123], v[122:123], s[18:19], v[114:115]
	;; [unrolled: 1-line block ×4, first 2 shown]
	v_fma_f64 v[24:25], v[128:129], s[14:15], -v[24:25]
	v_fma_f64 v[26:27], v[130:131], s[14:15], -v[26:27]
	v_fma_f64 v[12:13], v[128:129], s[16:17], -v[12:13]
	v_fma_f64 v[14:15], v[130:131], s[16:17], -v[14:15]
	v_fma_f64 v[128:129], v[116:117], s[22:23], v[124:125]
	v_fma_f64 v[130:131], v[118:119], s[22:23], v[126:127]
	v_fma_f64 v[124:125], v[212:213], s[4:5], -v[124:125]
	v_fma_f64 v[126:127], v[214:215], s[4:5], -v[126:127]
	v_fma_f64 v[116:117], v[116:117], s[8:9], v[132:133]
	v_fma_f64 v[118:119], v[118:119], s[8:9], v[134:135]
	v_add_f64 v[100:101], v[100:101], v[120:121]
	v_add_f64 v[102:103], v[102:103], v[122:123]
	v_fma_f64 v[212:213], v[48:49], s[2:3], v[128:129]
	v_fma_f64 v[214:215], v[50:51], s[2:3], v[130:131]
	v_add_f64 v[24:25], v[24:25], v[120:121]
	v_add_f64 v[26:27], v[26:27], v[122:123]
	v_add_f64 v[12:13], v[12:13], v[120:121]
	v_add_f64 v[14:15], v[14:15], v[122:123]
	v_fma_f64 v[120:121], v[48:49], s[2:3], v[124:125]
	v_fma_f64 v[122:123], v[50:51], s[2:3], v[126:127]
	;; [unrolled: 1-line block ×4, first 2 shown]
	v_add_f64 v[136:137], v[214:215], v[100:101]
	v_add_f64 v[138:139], v[102:103], -v[212:213]
	v_add_f64 v[116:117], v[100:101], -v[214:215]
	v_add_f64 v[118:119], v[212:213], v[102:103]
	v_add_f64 v[130:131], v[120:121], v[26:27]
	v_add_f64 v[128:129], v[24:25], -v[122:123]
	v_add_f64 v[134:135], v[14:15], -v[48:49]
	v_add_f64 v[132:133], v[50:51], v[12:13]
	;; [unrolled: 4-line block ×3, first 2 shown]
	s_waitcnt vmcnt(0)
	ds_write_b128 v8, v[112:115] offset:21952
	ds_write_b128 v8, v[136:139] offset:22736
	;; [unrolled: 1-line block ×7, first 2 shown]
	buffer_load_dword v8, off, s[40:43], 0 offset:1624 ; 4-byte Folded Reload
	v_add_f64 v[12:13], v[80:81], v[96:97]
	v_add_f64 v[14:15], v[82:83], v[98:99]
	;; [unrolled: 1-line block ×4, first 2 shown]
	v_add_f64 v[24:25], v[80:81], -v[96:97]
	v_add_f64 v[26:27], v[82:83], -v[98:99]
	;; [unrolled: 1-line block ×4, first 2 shown]
	v_add_f64 v[82:83], v[70:71], v[88:89]
	v_add_f64 v[84:85], v[86:87], v[90:91]
	v_add_f64 v[70:71], v[88:89], -v[70:71]
	v_add_f64 v[86:87], v[90:91], -v[86:87]
	v_add_f64 v[88:89], v[48:49], v[12:13]
	v_add_f64 v[90:91], v[50:51], v[14:15]
	v_add_f64 v[92:93], v[48:49], -v[12:13]
	v_add_f64 v[94:95], v[50:51], -v[14:15]
	;; [unrolled: 1-line block ×8, first 2 shown]
	v_add_f64 v[82:83], v[82:83], v[88:89]
	v_add_f64 v[84:85], v[84:85], v[90:91]
	;; [unrolled: 1-line block ×4, first 2 shown]
	v_add_f64 v[80:81], v[80:81], -v[24:25]
	v_add_f64 v[214:215], v[68:69], -v[26:27]
	;; [unrolled: 1-line block ×4, first 2 shown]
	v_add_f64 v[68:69], v[4:5], v[82:83]
	v_add_f64 v[70:71], v[6:7], v[84:85]
	v_mul_f64 v[4:5], v[12:13], s[26:27]
	v_mul_f64 v[6:7], v[14:15], s[26:27]
	v_mul_f64 v[12:13], v[48:49], s[6:7]
	v_mul_f64 v[14:15], v[50:51], s[6:7]
	v_mul_f64 v[88:89], v[100:101], s[20:21]
	v_mul_f64 v[90:91], v[102:103], s[20:21]
	v_add_f64 v[24:25], v[96:97], v[24:25]
	v_add_f64 v[26:27], v[98:99], v[26:27]
	v_mul_f64 v[96:97], v[80:81], s[24:25]
	v_mul_f64 v[98:99], v[214:215], s[24:25]
	v_fma_f64 v[82:83], v[82:83], s[18:19], v[68:69]
	v_fma_f64 v[84:85], v[84:85], s[18:19], v[70:71]
	;; [unrolled: 1-line block ×4, first 2 shown]
	v_fma_f64 v[12:13], v[92:93], s[14:15], -v[12:13]
	v_fma_f64 v[14:15], v[94:95], s[14:15], -v[14:15]
	;; [unrolled: 1-line block ×4, first 2 shown]
	v_fma_f64 v[92:93], v[212:213], s[22:23], v[88:89]
	v_fma_f64 v[94:95], v[86:87], s[22:23], v[90:91]
	v_fma_f64 v[80:81], v[80:81], s[4:5], -v[88:89]
	v_fma_f64 v[88:89], v[214:215], s[4:5], -v[90:91]
	v_fma_f64 v[90:91], v[212:213], s[8:9], v[96:97]
	v_fma_f64 v[86:87], v[86:87], s[8:9], v[98:99]
	v_add_f64 v[48:49], v[48:49], v[82:83]
	v_add_f64 v[50:51], v[50:51], v[84:85]
	;; [unrolled: 1-line block ×4, first 2 shown]
	v_fma_f64 v[82:83], v[24:25], s[2:3], v[92:93]
	v_fma_f64 v[212:213], v[26:27], s[2:3], v[94:95]
	v_add_f64 v[14:15], v[14:15], v[84:85]
	v_add_f64 v[6:7], v[6:7], v[84:85]
	v_fma_f64 v[80:81], v[24:25], s[2:3], v[80:81]
	v_fma_f64 v[84:85], v[26:27], s[2:3], v[88:89]
	;; [unrolled: 1-line block ×4, first 2 shown]
	v_add_f64 v[102:103], v[50:51], -v[82:83]
	v_add_f64 v[100:101], v[212:213], v[48:49]
	v_add_f64 v[82:83], v[82:83], v[50:51]
	v_add_f64 v[50:51], v[58:59], -v[206:207]
	v_add_f64 v[94:95], v[80:81], v[14:15]
	v_add_f64 v[92:93], v[12:13], -v[84:85]
	v_add_f64 v[98:99], v[6:7], -v[24:25]
	v_add_f64 v[96:97], v[26:27], v[4:5]
	v_add_f64 v[88:89], v[84:85], v[12:13]
	v_add_f64 v[90:91], v[14:15], -v[80:81]
	v_add_f64 v[84:85], v[4:5], -v[26:27]
	v_add_f64 v[86:87], v[24:25], v[6:7]
	v_add_f64 v[80:81], v[48:49], -v[212:213]
	s_waitcnt vmcnt(0)
	ds_write_b128 v8, v[68:71] offset:27440
	ds_write_b128 v8, v[100:103] offset:28224
	;; [unrolled: 1-line block ×7, first 2 shown]
	buffer_load_dword v8, off, s[40:43], 0 offset:924 ; 4-byte Folded Reload
	v_add_f64 v[4:5], v[52:53], v[208:209]
	v_add_f64 v[6:7], v[54:55], v[210:211]
	;; [unrolled: 1-line block ×4, first 2 shown]
	v_add_f64 v[12:13], v[52:53], -v[208:209]
	v_add_f64 v[14:15], v[54:55], -v[210:211]
	;; [unrolled: 1-line block ×3, first 2 shown]
	v_add_f64 v[52:53], v[220:221], v[200:201]
	v_add_f64 v[54:55], v[198:199], v[202:203]
	v_add_f64 v[56:57], v[200:201], -v[220:221]
	v_add_f64 v[58:59], v[202:203], -v[198:199]
	v_add_f64 v[197:198], v[24:25], v[4:5]
	v_add_f64 v[199:200], v[26:27], v[6:7]
	v_add_f64 v[201:202], v[24:25], -v[4:5]
	v_add_f64 v[203:204], v[26:27], -v[6:7]
	;; [unrolled: 1-line block ×6, first 2 shown]
	v_add_f64 v[205:206], v[56:57], v[48:49]
	v_add_f64 v[207:208], v[58:59], v[50:51]
	v_add_f64 v[209:210], v[56:57], -v[48:49]
	v_add_f64 v[211:212], v[58:59], -v[50:51]
	v_add_f64 v[52:53], v[52:53], v[197:198]
	v_add_f64 v[54:55], v[54:55], v[199:200]
	v_add_f64 v[48:49], v[48:49], -v[12:13]
	v_add_f64 v[50:51], v[50:51], -v[14:15]
	;; [unrolled: 1-line block ×4, first 2 shown]
	v_add_f64 v[12:13], v[205:206], v[12:13]
	v_add_f64 v[14:15], v[207:208], v[14:15]
	;; [unrolled: 1-line block ×4, first 2 shown]
	v_mul_f64 v[4:5], v[4:5], s[26:27]
	v_mul_f64 v[6:7], v[6:7], s[26:27]
	;; [unrolled: 1-line block ×8, first 2 shown]
	v_fma_f64 v[52:53], v[52:53], s[18:19], v[0:1]
	v_fma_f64 v[54:55], v[54:55], s[18:19], v[2:3]
	;; [unrolled: 1-line block ×4, first 2 shown]
	v_fma_f64 v[197:198], v[201:202], s[14:15], -v[197:198]
	v_fma_f64 v[199:200], v[203:204], s[14:15], -v[199:200]
	;; [unrolled: 1-line block ×4, first 2 shown]
	v_fma_f64 v[201:202], v[56:57], s[22:23], v[205:206]
	v_fma_f64 v[203:204], v[58:59], s[22:23], v[207:208]
	v_fma_f64 v[48:49], v[48:49], s[4:5], -v[205:206]
	v_fma_f64 v[56:57], v[56:57], s[8:9], v[209:210]
	v_fma_f64 v[58:59], v[58:59], s[8:9], v[211:212]
	v_fma_f64 v[50:51], v[50:51], s[4:5], -v[207:208]
	v_add_f64 v[205:206], v[24:25], v[52:53]
	v_add_f64 v[207:208], v[26:27], v[54:55]
	;; [unrolled: 1-line block ×4, first 2 shown]
	v_fma_f64 v[197:198], v[12:13], s[2:3], v[201:202]
	v_fma_f64 v[199:200], v[14:15], s[2:3], v[203:204]
	v_add_f64 v[4:5], v[4:5], v[52:53]
	v_add_f64 v[6:7], v[6:7], v[54:55]
	v_fma_f64 v[201:202], v[12:13], s[2:3], v[48:49]
	v_fma_f64 v[209:210], v[12:13], s[2:3], v[56:57]
	;; [unrolled: 1-line block ×4, first 2 shown]
	v_add_f64 v[58:59], v[207:208], -v[197:198]
	v_add_f64 v[56:57], v[199:200], v[205:206]
	v_add_f64 v[50:51], v[201:202], v[26:27]
	v_add_f64 v[54:55], v[6:7], -v[209:210]
	v_add_f64 v[52:53], v[12:13], v[4:5]
	v_add_f64 v[48:49], v[24:25], -v[203:204]
	;; [unrolled: 2-line block ×3, first 2 shown]
	v_add_f64 v[12:13], v[4:5], -v[12:13]
	v_add_f64 v[14:15], v[209:210], v[6:7]
	v_add_f64 v[4:5], v[205:206], -v[199:200]
	v_add_f64 v[6:7], v[197:198], v[207:208]
	s_waitcnt vmcnt(0)
	ds_write_b128 v8, v[0:3] offset:32928
	ds_write_b128 v8, v[56:59] offset:33712
	;; [unrolled: 1-line block ×7, first 2 shown]
	s_waitcnt lgkmcnt(0)
	; wave barrier
	s_waitcnt lgkmcnt(0)
	ds_read_b128 v[199:202], v196
	ds_read_b128 v[192:195], v196 offset:5488
	ds_read_b128 v[188:191], v196 offset:10976
	;; [unrolled: 1-line block ×21, first 2 shown]
	s_waitcnt lgkmcnt(0)
	buffer_store_dword v0, off, s[40:43], 0 offset:844 ; 4-byte Folded Spill
	s_nop 0
	buffer_store_dword v1, off, s[40:43], 0 offset:848 ; 4-byte Folded Spill
	buffer_store_dword v2, off, s[40:43], 0 offset:852 ; 4-byte Folded Spill
	buffer_store_dword v3, off, s[40:43], 0 offset:856 ; 4-byte Folded Spill
	ds_read_b128 v[120:123], v196 offset:7840
	ds_read_b128 v[116:119], v196 offset:13328
	ds_read_b128 v[112:115], v196 offset:18816
	ds_read_b128 v[108:111], v196 offset:24304
	ds_read_b128 v[104:107], v196 offset:29792
	ds_read_b128 v[100:103], v196 offset:35280
	ds_read_b128 v[0:3], v196 offset:3136
	s_waitcnt lgkmcnt(0)
	buffer_store_dword v0, off, s[40:43], 0 offset:828 ; 4-byte Folded Spill
	s_nop 0
	buffer_store_dword v1, off, s[40:43], 0 offset:832 ; 4-byte Folded Spill
	buffer_store_dword v2, off, s[40:43], 0 offset:836 ; 4-byte Folded Spill
	buffer_store_dword v3, off, s[40:43], 0 offset:840 ; 4-byte Folded Spill
	ds_read_b128 v[96:99], v196 offset:8624
	ds_read_b128 v[92:95], v196 offset:14112
	ds_read_b128 v[88:91], v196 offset:19600
	ds_read_b128 v[84:87], v196 offset:25088
	ds_read_b128 v[80:83], v196 offset:30576
	ds_read_b128 v[76:79], v196 offset:36064
	ds_read_b128 v[0:3], v196 offset:3920
	;; [unrolled: 13-line block ×3, first 2 shown]
	s_waitcnt lgkmcnt(0)
	buffer_store_dword v0, off, s[40:43], 0 offset:796 ; 4-byte Folded Spill
	s_nop 0
	buffer_store_dword v1, off, s[40:43], 0 offset:800 ; 4-byte Folded Spill
	buffer_store_dword v2, off, s[40:43], 0 offset:804 ; 4-byte Folded Spill
	;; [unrolled: 1-line block ×3, first 2 shown]
	ds_read_b128 v[36:39], v196 offset:10192
	ds_read_b128 v[32:35], v196 offset:15680
	;; [unrolled: 1-line block ×6, first 2 shown]
	buffer_load_dword v0, off, s[40:43], 0 offset:1028 ; 4-byte Folded Reload
	buffer_load_dword v1, off, s[40:43], 0 offset:1032 ; 4-byte Folded Reload
	;; [unrolled: 1-line block ×4, first 2 shown]
	s_waitcnt vmcnt(0)
	v_mul_f64 v[197:198], v[2:3], v[194:195]
	v_fma_f64 v[248:249], v[0:1], v[192:193], v[197:198]
	v_mul_f64 v[192:193], v[2:3], v[192:193]
	v_fma_f64 v[250:251], v[0:1], v[194:195], -v[192:193]
	buffer_load_dword v0, off, s[40:43], 0 offset:1044 ; 4-byte Folded Reload
	buffer_load_dword v1, off, s[40:43], 0 offset:1048 ; 4-byte Folded Reload
	;; [unrolled: 1-line block ×4, first 2 shown]
	s_waitcnt vmcnt(0)
	v_mul_f64 v[192:193], v[2:3], v[190:191]
	v_fma_f64 v[252:253], v[0:1], v[188:189], v[192:193]
	v_mul_f64 v[188:189], v[2:3], v[188:189]
	v_fma_f64 v[254:255], v[0:1], v[190:191], -v[188:189]
	buffer_load_dword v0, off, s[40:43], 0 offset:1060 ; 4-byte Folded Reload
	buffer_load_dword v1, off, s[40:43], 0 offset:1064 ; 4-byte Folded Reload
	;; [unrolled: 1-line block ×4, first 2 shown]
	s_waitcnt vmcnt(0)
	v_mul_f64 v[188:189], v[2:3], v[186:187]
	v_mul_f64 v[2:3], v[2:3], v[184:185]
	v_fma_f64 v[10:11], v[0:1], v[184:185], v[188:189]
	v_fma_f64 v[8:9], v[0:1], v[186:187], -v[2:3]
	buffer_load_dword v0, off, s[40:43], 0 offset:1076 ; 4-byte Folded Reload
	buffer_load_dword v1, off, s[40:43], 0 offset:1080 ; 4-byte Folded Reload
	;; [unrolled: 1-line block ×12, first 2 shown]
	s_waitcnt vmcnt(8)
	v_mul_f64 v[184:185], v[2:3], v[182:183]
	v_mul_f64 v[6:7], v[2:3], v[180:181]
	v_fma_f64 v[4:5], v[0:1], v[180:181], v[184:185]
	s_waitcnt vmcnt(4)
	v_mul_f64 v[180:181], v[14:15], v[178:179]
	v_mul_f64 v[14:15], v[14:15], v[176:177]
	v_fma_f64 v[6:7], v[0:1], v[182:183], -v[6:7]
	v_fma_f64 v[2:3], v[12:13], v[176:177], v[180:181]
	v_fma_f64 v[14:15], v[12:13], v[178:179], -v[14:15]
	s_waitcnt vmcnt(0)
	v_mul_f64 v[176:177], v[46:47], v[174:175]
	v_mul_f64 v[12:13], v[46:47], v[172:173]
	v_fma_f64 v[0:1], v[44:45], v[172:173], v[176:177]
	v_fma_f64 v[46:47], v[44:45], v[174:175], -v[12:13]
	buffer_load_dword v172, off, s[40:43], 0 offset:1428 ; 4-byte Folded Reload
	buffer_load_dword v173, off, s[40:43], 0 offset:1432 ; 4-byte Folded Reload
	buffer_load_dword v174, off, s[40:43], 0 offset:1436 ; 4-byte Folded Reload
	buffer_load_dword v175, off, s[40:43], 0 offset:1440 ; 4-byte Folded Reload
	s_waitcnt vmcnt(0)
	v_mul_f64 v[12:13], v[174:175], v[170:171]
	v_fma_f64 v[232:233], v[172:173], v[168:169], v[12:13]
	v_mul_f64 v[12:13], v[174:175], v[168:169]
	v_fma_f64 v[236:237], v[172:173], v[170:171], -v[12:13]
	buffer_load_dword v168, off, s[40:43], 0 offset:1444 ; 4-byte Folded Reload
	buffer_load_dword v169, off, s[40:43], 0 offset:1448 ; 4-byte Folded Reload
	buffer_load_dword v170, off, s[40:43], 0 offset:1452 ; 4-byte Folded Reload
	buffer_load_dword v171, off, s[40:43], 0 offset:1456 ; 4-byte Folded Reload
	s_waitcnt vmcnt(0)
	v_mul_f64 v[12:13], v[170:171], v[166:167]
	v_fma_f64 v[226:227], v[168:169], v[164:165], v[12:13]
	v_mul_f64 v[12:13], v[170:171], v[164:165]
	;; [unrolled: 9-line block ×19, first 2 shown]
	v_add_f64 v[102:103], v[112:113], v[108:109]
	v_fma_f64 v[138:139], v[124:125], v[98:99], -v[96:97]
	buffer_load_dword v124, off, s[40:43], 0 offset:2408 ; 4-byte Folded Reload
	buffer_load_dword v125, off, s[40:43], 0 offset:2412 ; 4-byte Folded Reload
	buffer_load_dword v126, off, s[40:43], 0 offset:2416 ; 4-byte Folded Reload
	buffer_load_dword v127, off, s[40:43], 0 offset:2420 ; 4-byte Folded Reload
	s_waitcnt vmcnt(0)
	v_mul_f64 v[96:97], v[126:127], v[94:95]
	v_fma_f64 v[128:129], v[124:125], v[92:93], v[96:97]
	v_mul_f64 v[92:93], v[126:127], v[92:93]
	v_fma_f64 v[130:131], v[124:125], v[94:95], -v[92:93]
	buffer_load_dword v94, off, s[40:43], 0 offset:2424 ; 4-byte Folded Reload
	buffer_load_dword v95, off, s[40:43], 0 offset:2428 ; 4-byte Folded Reload
	buffer_load_dword v96, off, s[40:43], 0 offset:2432 ; 4-byte Folded Reload
	buffer_load_dword v97, off, s[40:43], 0 offset:2436 ; 4-byte Folded Reload
	s_waitcnt vmcnt(0)
	v_mul_f64 v[92:93], v[96:97], v[90:91]
	v_fma_f64 v[124:125], v[94:95], v[88:89], v[92:93]
	v_mul_f64 v[88:89], v[96:97], v[88:89]
	v_fma_f64 v[126:127], v[94:95], v[90:91], -v[88:89]
	buffer_load_dword v90, off, s[40:43], 0 offset:2440 ; 4-byte Folded Reload
	buffer_load_dword v91, off, s[40:43], 0 offset:2444 ; 4-byte Folded Reload
	buffer_load_dword v92, off, s[40:43], 0 offset:2448 ; 4-byte Folded Reload
	buffer_load_dword v93, off, s[40:43], 0 offset:2452 ; 4-byte Folded Reload
	s_waitcnt vmcnt(0)
	v_mul_f64 v[88:89], v[92:93], v[86:87]
	v_fma_f64 v[132:133], v[90:91], v[84:85], v[88:89]
	v_mul_f64 v[84:85], v[92:93], v[84:85]
	v_fma_f64 v[134:135], v[90:91], v[86:87], -v[84:85]
	buffer_load_dword v86, off, s[40:43], 0 offset:2488 ; 4-byte Folded Reload
	buffer_load_dword v87, off, s[40:43], 0 offset:2492 ; 4-byte Folded Reload
	buffer_load_dword v88, off, s[40:43], 0 offset:2496 ; 4-byte Folded Reload
	buffer_load_dword v89, off, s[40:43], 0 offset:2500 ; 4-byte Folded Reload
	s_waitcnt vmcnt(0)
	v_mul_f64 v[84:85], v[88:89], v[82:83]
	v_fma_f64 v[140:141], v[86:87], v[80:81], v[84:85]
	v_mul_f64 v[80:81], v[88:89], v[80:81]
	v_fma_f64 v[142:143], v[86:87], v[82:83], -v[80:81]
	buffer_load_dword v82, off, s[40:43], 0 offset:2504 ; 4-byte Folded Reload
	buffer_load_dword v83, off, s[40:43], 0 offset:2508 ; 4-byte Folded Reload
	buffer_load_dword v84, off, s[40:43], 0 offset:2512 ; 4-byte Folded Reload
	buffer_load_dword v85, off, s[40:43], 0 offset:2516 ; 4-byte Folded Reload
	s_waitcnt vmcnt(0)
	v_mul_f64 v[80:81], v[84:85], v[78:79]
	v_fma_f64 v[144:145], v[82:83], v[76:77], v[80:81]
	v_mul_f64 v[76:77], v[84:85], v[76:77]
	v_fma_f64 v[146:147], v[82:83], v[78:79], -v[76:77]
	buffer_load_dword v78, off, s[40:43], 0 offset:2596 ; 4-byte Folded Reload
	buffer_load_dword v79, off, s[40:43], 0 offset:2600 ; 4-byte Folded Reload
	;; [unrolled: 1-line block ×4, first 2 shown]
	v_add_f64 v[82:83], v[208:209], -v[197:198]
	s_waitcnt vmcnt(0)
	v_mul_f64 v[76:77], v[80:81], v[70:71]
	v_fma_f64 v[158:159], v[78:79], v[68:69], v[76:77]
	v_mul_f64 v[68:69], v[80:81], v[68:69]
	v_add_f64 v[80:81], v[197:198], v[208:209]
	v_fma_f64 v[162:163], v[78:79], v[70:71], -v[68:69]
	buffer_load_dword v76, off, s[40:43], 0 offset:2628 ; 4-byte Folded Reload
	buffer_load_dword v77, off, s[40:43], 0 offset:2632 ; 4-byte Folded Reload
	buffer_load_dword v78, off, s[40:43], 0 offset:2636 ; 4-byte Folded Reload
	buffer_load_dword v79, off, s[40:43], 0 offset:2640 ; 4-byte Folded Reload
	s_waitcnt vmcnt(0)
	v_mul_f64 v[68:69], v[78:79], v[66:67]
	v_fma_f64 v[152:153], v[76:77], v[64:65], v[68:69]
	v_mul_f64 v[64:65], v[78:79], v[64:65]
	v_fma_f64 v[154:155], v[76:77], v[66:67], -v[64:65]
	buffer_load_dword v66, off, s[40:43], 0 offset:2644 ; 4-byte Folded Reload
	buffer_load_dword v67, off, s[40:43], 0 offset:2648 ; 4-byte Folded Reload
	buffer_load_dword v68, off, s[40:43], 0 offset:2652 ; 4-byte Folded Reload
	buffer_load_dword v69, off, s[40:43], 0 offset:2656 ; 4-byte Folded Reload
	s_waitcnt vmcnt(0)
	v_mul_f64 v[64:65], v[68:69], v[62:63]
	v_fma_f64 v[148:149], v[66:67], v[60:61], v[64:65]
	v_mul_f64 v[60:61], v[68:69], v[60:61]
	;; [unrolled: 9-line block ×4, first 2 shown]
	v_fma_f64 v[166:167], v[58:59], v[54:55], -v[52:53]
	buffer_load_dword v54, off, s[40:43], 0 offset:2708 ; 4-byte Folded Reload
	buffer_load_dword v55, off, s[40:43], 0 offset:2712 ; 4-byte Folded Reload
	;; [unrolled: 1-line block ×4, first 2 shown]
	v_add_f64 v[58:59], v[234:235], -v[224:225]
	s_waitcnt vmcnt(0)
	v_mul_f64 v[52:53], v[56:57], v[50:51]
	v_fma_f64 v[168:169], v[54:55], v[48:49], v[52:53]
	v_mul_f64 v[48:49], v[56:57], v[48:49]
	v_add_f64 v[56:57], v[230:231], -v[222:223]
	v_fma_f64 v[170:171], v[54:55], v[50:51], -v[48:49]
	buffer_load_dword v50, off, s[40:43], 0 offset:2724 ; 4-byte Folded Reload
	buffer_load_dword v51, off, s[40:43], 0 offset:2728 ; 4-byte Folded Reload
	buffer_load_dword v52, off, s[40:43], 0 offset:2732 ; 4-byte Folded Reload
	buffer_load_dword v53, off, s[40:43], 0 offset:2736 ; 4-byte Folded Reload
	s_waitcnt vmcnt(0) lgkmcnt(5)
	v_mul_f64 v[48:49], v[52:53], v[38:39]
	v_fma_f64 v[184:185], v[50:51], v[36:37], v[48:49]
	v_mul_f64 v[36:37], v[52:53], v[36:37]
	v_fma_f64 v[186:187], v[50:51], v[38:39], -v[36:37]
	buffer_load_dword v48, off, s[40:43], 0 offset:2740 ; 4-byte Folded Reload
	buffer_load_dword v49, off, s[40:43], 0 offset:2744 ; 4-byte Folded Reload
	buffer_load_dword v50, off, s[40:43], 0 offset:2748 ; 4-byte Folded Reload
	buffer_load_dword v51, off, s[40:43], 0 offset:2752 ; 4-byte Folded Reload
	s_waitcnt vmcnt(0) lgkmcnt(4)
	v_mul_f64 v[36:37], v[50:51], v[34:35]
	v_fma_f64 v[176:177], v[48:49], v[32:33], v[36:37]
	v_mul_f64 v[32:33], v[50:51], v[32:33]
	v_fma_f64 v[180:181], v[48:49], v[34:35], -v[32:33]
	buffer_load_dword v34, off, s[40:43], 0 offset:2756 ; 4-byte Folded Reload
	buffer_load_dword v35, off, s[40:43], 0 offset:2760 ; 4-byte Folded Reload
	buffer_load_dword v36, off, s[40:43], 0 offset:2764 ; 4-byte Folded Reload
	buffer_load_dword v37, off, s[40:43], 0 offset:2768 ; 4-byte Folded Reload
	s_waitcnt vmcnt(0) lgkmcnt(3)
	v_mul_f64 v[32:33], v[36:37], v[30:31]
	v_fma_f64 v[172:173], v[34:35], v[28:29], v[32:33]
	v_mul_f64 v[28:29], v[36:37], v[28:29]
	v_fma_f64 v[174:175], v[34:35], v[30:31], -v[28:29]
	buffer_load_dword v30, off, s[40:43], 0 offset:2772 ; 4-byte Folded Reload
	buffer_load_dword v31, off, s[40:43], 0 offset:2776 ; 4-byte Folded Reload
	buffer_load_dword v32, off, s[40:43], 0 offset:2780 ; 4-byte Folded Reload
	buffer_load_dword v33, off, s[40:43], 0 offset:2784 ; 4-byte Folded Reload
	s_waitcnt vmcnt(0) lgkmcnt(2)
	v_mul_f64 v[28:29], v[32:33], v[26:27]
	v_fma_f64 v[178:179], v[30:31], v[24:25], v[28:29]
	v_mul_f64 v[24:25], v[32:33], v[24:25]
	v_fma_f64 v[182:183], v[30:31], v[26:27], -v[24:25]
	buffer_load_dword v26, off, s[40:43], 0 offset:2796 ; 4-byte Folded Reload
	buffer_load_dword v27, off, s[40:43], 0 offset:2800 ; 4-byte Folded Reload
	buffer_load_dword v28, off, s[40:43], 0 offset:2804 ; 4-byte Folded Reload
	buffer_load_dword v29, off, s[40:43], 0 offset:2808 ; 4-byte Folded Reload
	s_waitcnt vmcnt(0) lgkmcnt(1)
	v_mul_f64 v[24:25], v[28:29], v[22:23]
	v_fma_f64 v[188:189], v[26:27], v[20:21], v[24:25]
	v_mul_f64 v[20:21], v[28:29], v[20:21]
	v_add_f64 v[28:29], v[8:9], v[6:7]
	v_add_f64 v[6:7], v[6:7], -v[8:9]
	v_fma_f64 v[190:191], v[26:27], v[22:23], -v[20:21]
	buffer_load_dword v22, off, s[40:43], 0 offset:2812 ; 4-byte Folded Reload
	buffer_load_dword v23, off, s[40:43], 0 offset:2816 ; 4-byte Folded Reload
	;; [unrolled: 1-line block ×4, first 2 shown]
	v_add_f64 v[26:27], v[10:11], v[4:5]
	v_add_f64 v[4:5], v[4:5], -v[10:11]
	s_waitcnt vmcnt(0) lgkmcnt(0)
	v_mul_f64 v[20:21], v[24:25], v[18:19]
	v_fma_f64 v[192:193], v[22:23], v[16:17], v[20:21]
	v_mul_f64 v[16:17], v[24:25], v[16:17]
	v_add_f64 v[24:25], v[254:255], v[14:15]
	v_add_f64 v[14:15], v[254:255], -v[14:15]
	v_add_f64 v[20:21], v[250:251], -v[46:47]
	v_fma_f64 v[194:195], v[22:23], v[18:19], -v[16:17]
	v_add_f64 v[16:17], v[248:249], v[0:1]
	v_add_f64 v[18:19], v[250:251], v[46:47]
	;; [unrolled: 1-line block ×3, first 2 shown]
	v_add_f64 v[0:1], v[248:249], -v[0:1]
	v_add_f64 v[2:3], v[252:253], -v[2:3]
	v_add_f64 v[36:37], v[6:7], v[14:15]
	v_add_f64 v[46:47], v[6:7], -v[14:15]
	v_add_f64 v[6:7], v[20:21], -v[6:7]
	v_add_f64 v[14:15], v[14:15], -v[20:21]
	v_add_f64 v[10:11], v[24:25], v[18:19]
	v_add_f64 v[8:9], v[22:23], v[16:17]
	v_add_f64 v[30:31], v[22:23], -v[16:17]
	v_add_f64 v[32:33], v[24:25], -v[18:19]
	;; [unrolled: 1-line block ×6, first 2 shown]
	v_add_f64 v[34:35], v[4:5], v[2:3]
	v_add_f64 v[38:39], v[4:5], -v[2:3]
	v_add_f64 v[2:3], v[2:3], -v[0:1]
	v_add_f64 v[26:27], v[26:27], v[8:9]
	v_add_f64 v[28:29], v[28:29], v[10:11]
	v_add_f64 v[4:5], v[0:1], -v[4:5]
	v_add_f64 v[20:21], v[36:37], v[20:21]
	v_mul_f64 v[16:17], v[16:17], s[26:27]
	v_add_f64 v[0:1], v[34:35], v[0:1]
	v_mul_f64 v[18:19], v[18:19], s[26:27]
	v_mul_f64 v[34:35], v[22:23], s[6:7]
	v_add_f64 v[8:9], v[199:200], v[26:27]
	v_add_f64 v[10:11], v[201:202], v[28:29]
	v_mul_f64 v[36:37], v[24:25], s[6:7]
	v_mul_f64 v[38:39], v[38:39], s[20:21]
	;; [unrolled: 1-line block ×5, first 2 shown]
	v_fma_f64 v[22:23], v[22:23], s[6:7], v[16:17]
	v_fma_f64 v[26:27], v[26:27], s[18:19], v[8:9]
	;; [unrolled: 1-line block ×4, first 2 shown]
	v_fma_f64 v[34:35], v[30:31], s[14:15], -v[34:35]
	v_fma_f64 v[36:37], v[32:33], s[14:15], -v[36:37]
	;; [unrolled: 1-line block ×4, first 2 shown]
	v_fma_f64 v[30:31], v[4:5], s[22:23], v[38:39]
	v_fma_f64 v[32:33], v[6:7], s[22:23], v[46:47]
	v_fma_f64 v[2:3], v[2:3], s[4:5], -v[38:39]
	v_fma_f64 v[14:15], v[14:15], s[4:5], -v[46:47]
	v_fma_f64 v[4:5], v[4:5], s[8:9], v[48:49]
	v_fma_f64 v[6:7], v[6:7], s[8:9], v[50:51]
	v_add_f64 v[38:39], v[22:23], v[26:27]
	v_add_f64 v[46:47], v[24:25], v[28:29]
	v_add_f64 v[34:35], v[34:35], v[26:27]
	v_add_f64 v[36:37], v[36:37], v[28:29]
	v_add_f64 v[50:51], v[18:19], v[28:29]
	v_fma_f64 v[52:53], v[0:1], s[2:3], v[30:31]
	v_fma_f64 v[54:55], v[20:21], s[2:3], v[32:33]
	;; [unrolled: 1-line block ×5, first 2 shown]
	v_add_f64 v[48:49], v[16:17], v[26:27]
	v_fma_f64 v[4:5], v[20:21], s[2:3], v[6:7]
	v_add_f64 v[6:7], v[236:237], -v[244:245]
	v_add_f64 v[22:23], v[46:47], -v[52:53]
	v_add_f64 v[20:21], v[54:55], v[38:39]
	v_add_f64 v[26:27], v[2:3], v[36:37]
	v_add_f64 v[24:25], v[34:35], -v[14:15]
	v_add_f64 v[18:19], v[50:51], -v[0:1]
	v_add_f64 v[28:29], v[14:15], v[34:35]
	v_add_f64 v[30:31], v[36:37], -v[2:3]
	v_add_f64 v[34:35], v[0:1], v[50:51]
	;; [unrolled: 2-line block ×3, first 2 shown]
	v_add_f64 v[0:1], v[232:233], v[242:243]
	v_add_f64 v[2:3], v[236:237], v[244:245]
	;; [unrolled: 1-line block ×5, first 2 shown]
	v_add_f64 v[32:33], v[48:49], -v[4:5]
	v_add_f64 v[4:5], v[232:233], -v[242:243]
	v_add_f64 v[48:49], v[226:227], -v[238:239]
	v_add_f64 v[50:51], v[228:229], -v[240:241]
	v_add_f64 v[52:53], v[222:223], v[230:231]
	v_add_f64 v[54:55], v[224:225], v[234:235]
	;; [unrolled: 1-line block ×4, first 2 shown]
	v_add_f64 v[64:65], v[14:15], -v[0:1]
	v_add_f64 v[66:67], v[46:47], -v[2:3]
	v_add_f64 v[68:69], v[56:57], v[48:49]
	v_add_f64 v[70:71], v[58:59], v[50:51]
	v_add_f64 v[0:1], v[0:1], -v[52:53]
	v_add_f64 v[2:3], v[2:3], -v[54:55]
	;; [unrolled: 1-line block ×8, first 2 shown]
	v_add_f64 v[52:53], v[52:53], v[60:61]
	v_add_f64 v[54:55], v[54:55], v[62:63]
	v_add_f64 v[56:57], v[4:5], -v[56:57]
	v_add_f64 v[58:59], v[6:7], -v[58:59]
	v_add_f64 v[4:5], v[68:69], v[4:5]
	v_add_f64 v[6:7], v[70:71], v[6:7]
	v_mul_f64 v[0:1], v[0:1], s[26:27]
	v_mul_f64 v[2:3], v[2:3], s[26:27]
	v_add_f64 v[40:41], v[40:41], v[52:53]
	v_add_f64 v[42:43], v[42:43], v[54:55]
	v_mul_f64 v[60:61], v[14:15], s[6:7]
	v_mul_f64 v[62:63], v[46:47], s[6:7]
	v_mul_f64 v[68:69], v[76:77], s[20:21]
	v_mul_f64 v[70:71], v[78:79], s[20:21]
	v_mul_f64 v[76:77], v[48:49], s[24:25]
	v_mul_f64 v[78:79], v[50:51], s[24:25]
	v_fma_f64 v[52:53], v[52:53], s[18:19], v[40:41]
	v_fma_f64 v[54:55], v[54:55], s[18:19], v[42:43]
	;; [unrolled: 1-line block ×4, first 2 shown]
	v_fma_f64 v[60:61], v[64:65], s[14:15], -v[60:61]
	v_fma_f64 v[62:63], v[66:67], s[14:15], -v[62:63]
	;; [unrolled: 1-line block ×4, first 2 shown]
	v_fma_f64 v[64:65], v[56:57], s[22:23], v[68:69]
	v_fma_f64 v[66:67], v[58:59], s[22:23], v[70:71]
	v_fma_f64 v[48:49], v[48:49], s[4:5], -v[68:69]
	v_fma_f64 v[50:51], v[50:51], s[4:5], -v[70:71]
	v_fma_f64 v[56:57], v[56:57], s[8:9], v[76:77]
	v_fma_f64 v[58:59], v[58:59], s[8:9], v[78:79]
	v_add_f64 v[14:15], v[14:15], v[52:53]
	v_add_f64 v[46:47], v[46:47], v[54:55]
	;; [unrolled: 1-line block ×6, first 2 shown]
	v_fma_f64 v[70:71], v[4:5], s[2:3], v[64:65]
	v_fma_f64 v[68:69], v[6:7], s[2:3], v[66:67]
	;; [unrolled: 1-line block ×6, first 2 shown]
	v_add_f64 v[76:77], v[204:205], -v[216:217]
	v_add_f64 v[78:79], v[12:13], v[206:207]
	v_add_f64 v[54:55], v[46:47], -v[70:71]
	v_add_f64 v[52:53], v[68:69], v[14:15]
	v_add_f64 v[58:59], v[64:65], v[62:63]
	v_add_f64 v[56:57], v[60:61], -v[66:67]
	v_add_f64 v[50:51], v[2:3], -v[4:5]
	v_add_f64 v[48:49], v[6:7], v[0:1]
	v_add_f64 v[60:61], v[66:67], v[60:61]
	v_add_f64 v[62:63], v[62:63], -v[64:65]
	v_add_f64 v[64:65], v[0:1], -v[6:7]
	v_add_f64 v[66:67], v[4:5], v[2:3]
	v_add_f64 v[68:69], v[14:15], -v[68:69]
	v_add_f64 v[70:71], v[70:71], v[46:47]
	v_add_f64 v[0:1], v[210:211], v[218:219]
	;; [unrolled: 1-line block ×5, first 2 shown]
	v_add_f64 v[4:5], v[210:211], -v[218:219]
	v_add_f64 v[6:7], v[212:213], -v[220:221]
	;; [unrolled: 1-line block ×4, first 2 shown]
	v_add_f64 v[94:95], v[82:83], v[76:77]
	v_add_f64 v[98:99], v[82:83], -v[76:77]
	v_add_f64 v[84:85], v[14:15], v[0:1]
	v_add_f64 v[86:87], v[46:47], v[2:3]
	v_add_f64 v[88:89], v[14:15], -v[0:1]
	v_add_f64 v[90:91], v[46:47], -v[2:3]
	;; [unrolled: 1-line block ×6, first 2 shown]
	v_add_f64 v[92:93], v[12:13], v[44:45]
	v_add_f64 v[96:97], v[12:13], -v[44:45]
	v_add_f64 v[44:45], v[44:45], -v[4:5]
	;; [unrolled: 1-line block ×3, first 2 shown]
	v_add_f64 v[78:79], v[78:79], v[84:85]
	v_add_f64 v[80:81], v[80:81], v[86:87]
	v_add_f64 v[12:13], v[4:5], -v[12:13]
	v_add_f64 v[82:83], v[6:7], -v[82:83]
	v_add_f64 v[4:5], v[92:93], v[4:5]
	v_add_f64 v[6:7], v[94:95], v[6:7]
	v_mul_f64 v[0:1], v[0:1], s[26:27]
	v_mul_f64 v[2:3], v[2:3], s[26:27]
	v_add_f64 v[72:73], v[72:73], v[78:79]
	v_add_f64 v[74:75], v[74:75], v[80:81]
	v_mul_f64 v[84:85], v[14:15], s[6:7]
	v_mul_f64 v[86:87], v[46:47], s[6:7]
	v_mul_f64 v[92:93], v[96:97], s[20:21]
	v_mul_f64 v[94:95], v[98:99], s[20:21]
	v_mul_f64 v[96:97], v[44:45], s[24:25]
	v_mul_f64 v[98:99], v[76:77], s[24:25]
	v_fma_f64 v[78:79], v[78:79], s[18:19], v[72:73]
	v_fma_f64 v[80:81], v[80:81], s[18:19], v[74:75]
	;; [unrolled: 1-line block ×4, first 2 shown]
	v_fma_f64 v[84:85], v[88:89], s[14:15], -v[84:85]
	v_fma_f64 v[86:87], v[90:91], s[14:15], -v[86:87]
	v_fma_f64 v[0:1], v[88:89], s[16:17], -v[0:1]
	v_fma_f64 v[2:3], v[90:91], s[16:17], -v[2:3]
	v_fma_f64 v[88:89], v[12:13], s[22:23], v[92:93]
	v_fma_f64 v[90:91], v[82:83], s[22:23], v[94:95]
	v_fma_f64 v[44:45], v[44:45], s[4:5], -v[92:93]
	v_fma_f64 v[76:77], v[76:77], s[4:5], -v[94:95]
	v_fma_f64 v[12:13], v[12:13], s[8:9], v[96:97]
	v_fma_f64 v[82:83], v[82:83], s[8:9], v[98:99]
	v_add_f64 v[14:15], v[14:15], v[78:79]
	v_add_f64 v[46:47], v[46:47], v[80:81]
	;; [unrolled: 1-line block ×6, first 2 shown]
	v_fma_f64 v[98:99], v[4:5], s[2:3], v[88:89]
	v_fma_f64 v[96:97], v[6:7], s[2:3], v[90:91]
	;; [unrolled: 1-line block ×6, first 2 shown]
	v_add_f64 v[12:13], v[120:121], v[110:111]
	v_add_f64 v[82:83], v[46:47], -v[98:99]
	v_add_f64 v[80:81], v[96:97], v[14:15]
	v_add_f64 v[86:87], v[44:45], v[94:95]
	v_add_f64 v[84:85], v[92:93], -v[88:89]
	v_add_f64 v[78:79], v[2:3], -v[4:5]
	v_add_f64 v[76:77], v[6:7], v[0:1]
	v_add_f64 v[88:89], v[88:89], v[92:93]
	v_add_f64 v[90:91], v[94:95], -v[44:45]
	v_add_f64 v[92:93], v[0:1], -v[6:7]
	v_add_f64 v[94:95], v[4:5], v[2:3]
	v_add_f64 v[96:97], v[14:15], -v[96:97]
	v_add_f64 v[98:99], v[98:99], v[46:47]
	v_add_f64 v[0:1], v[246:247], v[106:107]
	v_add_f64 v[4:5], v[246:247], -v[106:107]
	v_add_f64 v[6:7], v[122:123], -v[100:101]
	v_add_f64 v[14:15], v[118:119], v[104:105]
	v_add_f64 v[44:45], v[120:121], -v[110:111]
	v_add_f64 v[46:47], v[118:119], -v[104:105]
	;; [unrolled: 1-line block ×4, first 2 shown]
	v_add_f64 v[2:3], v[122:123], v[100:101]
	v_add_f64 v[100:101], v[116:117], v[114:115]
	;; [unrolled: 1-line block ×3, first 2 shown]
	v_add_f64 v[112:113], v[12:13], -v[0:1]
	v_add_f64 v[197:198], v[44:45], -v[4:5]
	;; [unrolled: 1-line block ×3, first 2 shown]
	v_add_f64 v[116:117], v[104:105], v[44:45]
	v_add_f64 v[118:119], v[106:107], v[46:47]
	v_add_f64 v[120:121], v[104:105], -v[44:45]
	v_add_f64 v[122:123], v[106:107], -v[46:47]
	buffer_load_dword v44, off, s[40:43], 0 offset:844 ; 4-byte Folded Reload
	buffer_load_dword v45, off, s[40:43], 0 offset:848 ; 4-byte Folded Reload
	;; [unrolled: 1-line block ×4, first 2 shown]
	v_add_f64 v[110:111], v[14:15], v[2:3]
	v_add_f64 v[114:115], v[14:15], -v[2:3]
	v_add_f64 v[0:1], v[0:1], -v[100:101]
	;; [unrolled: 1-line block ×5, first 2 shown]
	v_add_f64 v[100:101], v[100:101], v[108:109]
	v_add_f64 v[104:105], v[4:5], -v[104:105]
	v_add_f64 v[102:103], v[102:103], v[110:111]
	v_add_f64 v[106:107], v[6:7], -v[106:107]
	v_add_f64 v[4:5], v[116:117], v[4:5]
	v_add_f64 v[6:7], v[118:119], v[6:7]
	v_mul_f64 v[0:1], v[0:1], s[26:27]
	v_mul_f64 v[2:3], v[2:3], s[26:27]
	;; [unrolled: 1-line block ×8, first 2 shown]
	v_fma_f64 v[12:13], v[12:13], s[6:7], v[0:1]
	v_fma_f64 v[14:15], v[14:15], s[6:7], v[2:3]
	v_fma_f64 v[108:109], v[112:113], s[14:15], -v[108:109]
	v_fma_f64 v[110:111], v[114:115], s[14:15], -v[110:111]
	;; [unrolled: 1-line block ×4, first 2 shown]
	v_fma_f64 v[112:113], v[104:105], s[22:23], v[116:117]
	v_fma_f64 v[114:115], v[106:107], s[22:23], v[118:119]
	v_fma_f64 v[116:117], v[197:198], s[4:5], -v[116:117]
	v_fma_f64 v[118:119], v[199:200], s[4:5], -v[118:119]
	v_fma_f64 v[104:105], v[104:105], s[8:9], v[120:121]
	v_fma_f64 v[106:107], v[106:107], s[8:9], v[122:123]
	v_fma_f64 v[197:198], v[4:5], s[2:3], v[112:113]
	v_fma_f64 v[199:200], v[6:7], s[2:3], v[114:115]
	v_fma_f64 v[114:115], v[4:5], s[2:3], v[116:117]
	v_fma_f64 v[112:113], v[6:7], s[2:3], v[118:119]
	v_fma_f64 v[4:5], v[4:5], s[2:3], v[104:105]
	v_fma_f64 v[6:7], v[6:7], s[2:3], v[106:107]
	s_waitcnt vmcnt(2)
	v_add_f64 v[44:45], v[44:45], v[100:101]
	s_waitcnt vmcnt(0)
	v_add_f64 v[46:47], v[46:47], v[102:103]
	v_fma_f64 v[100:101], v[100:101], s[18:19], v[44:45]
	v_fma_f64 v[102:103], v[102:103], s[18:19], v[46:47]
	v_add_f64 v[12:13], v[12:13], v[100:101]
	v_add_f64 v[14:15], v[14:15], v[102:103]
	v_add_f64 v[120:121], v[108:109], v[100:101]
	v_add_f64 v[122:123], v[110:111], v[102:103]
	v_add_f64 v[0:1], v[0:1], v[100:101]
	v_add_f64 v[2:3], v[2:3], v[102:103]
	v_add_f64 v[104:105], v[199:200], v[12:13]
	v_add_f64 v[106:107], v[14:15], -v[197:198]
	v_add_f64 v[108:109], v[120:121], -v[112:113]
	v_add_f64 v[110:111], v[114:115], v[122:123]
	v_add_f64 v[100:101], v[6:7], v[0:1]
	v_add_f64 v[102:103], v[2:3], -v[4:5]
	v_add_f64 v[112:113], v[112:113], v[120:121]
	v_add_f64 v[114:115], v[122:123], -v[114:115]
	v_add_f64 v[116:117], v[0:1], -v[6:7]
	v_add_f64 v[118:119], v[4:5], v[2:3]
	v_add_f64 v[120:121], v[12:13], -v[199:200]
	v_add_f64 v[122:123], v[197:198], v[14:15]
	v_add_f64 v[0:1], v[136:137], v[144:145]
	v_add_f64 v[2:3], v[138:139], v[146:147]
	v_add_f64 v[4:5], v[136:137], -v[144:145]
	v_add_f64 v[6:7], v[138:139], -v[146:147]
	v_add_f64 v[12:13], v[128:129], v[140:141]
	v_add_f64 v[14:15], v[130:131], v[142:143]
	v_add_f64 v[128:129], v[128:129], -v[140:141]
	v_add_f64 v[130:131], v[130:131], -v[142:143]
	v_add_f64 v[136:137], v[124:125], v[132:133]
	v_add_f64 v[138:139], v[126:127], v[134:135]
	v_add_f64 v[124:125], v[132:133], -v[124:125]
	v_add_f64 v[126:127], v[134:135], -v[126:127]
	v_add_f64 v[132:133], v[12:13], v[0:1]
	v_add_f64 v[134:135], v[14:15], v[2:3]
	v_add_f64 v[140:141], v[12:13], -v[0:1]
	v_add_f64 v[142:143], v[14:15], -v[2:3]
	;; [unrolled: 1-line block ×4, first 2 shown]
	v_add_f64 v[12:13], v[124:125], v[128:129]
	v_add_f64 v[14:15], v[126:127], v[130:131]
	v_add_f64 v[197:198], v[124:125], -v[128:129]
	v_add_f64 v[199:200], v[126:127], -v[130:131]
	;; [unrolled: 1-line block ×6, first 2 shown]
	v_add_f64 v[4:5], v[12:13], v[4:5]
	v_add_f64 v[6:7], v[14:15], v[6:7]
	buffer_load_dword v12, off, s[40:43], 0 offset:828 ; 4-byte Folded Reload
	buffer_load_dword v13, off, s[40:43], 0 offset:832 ; 4-byte Folded Reload
	;; [unrolled: 1-line block ×4, first 2 shown]
	v_add_f64 v[0:1], v[0:1], -v[136:137]
	v_add_f64 v[2:3], v[2:3], -v[138:139]
	v_add_f64 v[132:133], v[136:137], v[132:133]
	v_add_f64 v[134:135], v[138:139], v[134:135]
	v_mul_f64 v[136:137], v[144:145], s[6:7]
	v_mul_f64 v[138:139], v[146:147], s[6:7]
	;; [unrolled: 1-line block ×8, first 2 shown]
	v_fma_f64 v[136:137], v[140:141], s[14:15], -v[136:137]
	v_fma_f64 v[138:139], v[142:143], s[14:15], -v[138:139]
	;; [unrolled: 1-line block ×4, first 2 shown]
	v_fma_f64 v[144:145], v[144:145], s[6:7], v[0:1]
	v_fma_f64 v[146:147], v[146:147], s[6:7], v[2:3]
	v_fma_f64 v[0:1], v[140:141], s[16:17], -v[0:1]
	v_fma_f64 v[2:3], v[142:143], s[16:17], -v[2:3]
	v_fma_f64 v[140:141], v[124:125], s[22:23], v[197:198]
	v_fma_f64 v[142:143], v[126:127], s[22:23], v[199:200]
	;; [unrolled: 1-line block ×10, first 2 shown]
	s_waitcnt vmcnt(2)
	v_add_f64 v[12:13], v[12:13], v[132:133]
	s_waitcnt vmcnt(0)
	v_add_f64 v[14:15], v[14:15], v[134:135]
	v_fma_f64 v[132:133], v[132:133], s[18:19], v[12:13]
	v_fma_f64 v[134:135], v[134:135], s[18:19], v[14:15]
	v_add_f64 v[136:137], v[136:137], v[132:133]
	v_add_f64 v[138:139], v[138:139], v[134:135]
	;; [unrolled: 1-line block ×6, first 2 shown]
	v_add_f64 v[132:133], v[136:137], -v[142:143]
	v_add_f64 v[134:135], v[140:141], v[138:139]
	v_add_f64 v[124:125], v[6:7], v[0:1]
	v_add_f64 v[126:127], v[2:3], -v[4:5]
	v_add_f64 v[136:137], v[142:143], v[136:137]
	v_add_f64 v[138:139], v[138:139], -v[140:141]
	v_add_f64 v[140:141], v[0:1], -v[6:7]
	v_add_f64 v[142:143], v[4:5], v[2:3]
	v_add_f64 v[0:1], v[158:159], v[168:169]
	;; [unrolled: 1-line block ×3, first 2 shown]
	v_add_f64 v[4:5], v[158:159], -v[168:169]
	v_add_f64 v[6:7], v[162:163], -v[170:171]
	v_add_f64 v[158:159], v[152:153], v[164:165]
	v_add_f64 v[162:163], v[154:155], v[166:167]
	v_add_f64 v[152:153], v[152:153], -v[164:165]
	v_add_f64 v[154:155], v[154:155], -v[166:167]
	v_add_f64 v[164:165], v[148:149], v[156:157]
	v_add_f64 v[166:167], v[150:151], v[160:161]
	v_add_f64 v[148:149], v[156:157], -v[148:149]
	v_add_f64 v[150:151], v[160:161], -v[150:151]
	v_add_f64 v[128:129], v[199:200], v[144:145]
	v_add_f64 v[130:131], v[146:147], -v[197:198]
	v_add_f64 v[144:145], v[144:145], -v[199:200]
	v_add_f64 v[146:147], v[197:198], v[146:147]
	v_add_f64 v[156:157], v[158:159], v[0:1]
	;; [unrolled: 1-line block ×5, first 2 shown]
	v_add_f64 v[168:169], v[158:159], -v[0:1]
	v_add_f64 v[170:171], v[162:163], -v[2:3]
	;; [unrolled: 1-line block ×12, first 2 shown]
	v_add_f64 v[156:157], v[164:165], v[156:157]
	v_add_f64 v[160:161], v[166:167], v[160:161]
	;; [unrolled: 1-line block ×4, first 2 shown]
	buffer_load_dword v4, off, s[40:43], 0 offset:812 ; 4-byte Folded Reload
	buffer_load_dword v5, off, s[40:43], 0 offset:816 ; 4-byte Folded Reload
	;; [unrolled: 1-line block ×4, first 2 shown]
	v_mul_f64 v[0:1], v[0:1], s[26:27]
	v_mul_f64 v[2:3], v[2:3], s[26:27]
	v_mul_f64 v[197:198], v[158:159], s[6:7]
	v_mul_f64 v[199:200], v[162:163], s[6:7]
	v_mul_f64 v[201:202], v[201:202], s[20:21]
	v_mul_f64 v[203:204], v[203:204], s[20:21]
	v_mul_f64 v[205:206], v[152:153], s[24:25]
	v_mul_f64 v[207:208], v[154:155], s[24:25]
	v_fma_f64 v[158:159], v[158:159], s[6:7], v[0:1]
	v_fma_f64 v[162:163], v[162:163], s[6:7], v[2:3]
	v_fma_f64 v[197:198], v[168:169], s[14:15], -v[197:198]
	v_fma_f64 v[199:200], v[170:171], s[14:15], -v[199:200]
	;; [unrolled: 1-line block ×4, first 2 shown]
	v_fma_f64 v[168:169], v[148:149], s[22:23], v[201:202]
	v_fma_f64 v[170:171], v[150:151], s[22:23], v[203:204]
	v_fma_f64 v[152:153], v[152:153], s[4:5], -v[201:202]
	v_fma_f64 v[148:149], v[148:149], s[8:9], v[205:206]
	v_fma_f64 v[150:151], v[150:151], s[8:9], v[207:208]
	v_fma_f64 v[154:155], v[154:155], s[4:5], -v[203:204]
	v_fma_f64 v[205:206], v[164:165], s[2:3], v[148:149]
	s_waitcnt vmcnt(2)
	v_add_f64 v[4:5], v[4:5], v[156:157]
	s_waitcnt vmcnt(0)
	v_add_f64 v[6:7], v[6:7], v[160:161]
	v_fma_f64 v[156:157], v[156:157], s[18:19], v[4:5]
	v_fma_f64 v[160:161], v[160:161], s[18:19], v[6:7]
	v_add_f64 v[201:202], v[158:159], v[156:157]
	v_add_f64 v[158:159], v[197:198], v[156:157]
	v_add_f64 v[197:198], v[199:200], v[160:161]
	v_add_f64 v[0:1], v[0:1], v[156:157]
	v_add_f64 v[2:3], v[2:3], v[160:161]
	v_fma_f64 v[199:200], v[164:165], s[2:3], v[168:169]
	v_fma_f64 v[168:169], v[166:167], s[2:3], v[170:171]
	;; [unrolled: 1-line block ×4, first 2 shown]
	v_add_f64 v[203:204], v[162:163], v[160:161]
	v_fma_f64 v[156:157], v[166:167], s[2:3], v[154:155]
	v_add_f64 v[150:151], v[2:3], -v[205:206]
	v_add_f64 v[166:167], v[205:206], v[2:3]
	v_add_f64 v[2:3], v[186:187], v[194:195]
	v_add_f64 v[186:187], v[186:187], -v[194:195]
	v_add_f64 v[148:149], v[164:165], v[0:1]
	v_add_f64 v[164:165], v[0:1], -v[164:165]
	;; [unrolled: 2-line block ×3, first 2 shown]
	v_add_f64 v[192:193], v[176:177], v[188:189]
	v_add_f64 v[194:195], v[180:181], v[190:191]
	v_add_f64 v[176:177], v[176:177], -v[188:189]
	v_add_f64 v[180:181], v[180:181], -v[190:191]
	v_add_f64 v[188:189], v[172:173], v[178:179]
	v_add_f64 v[190:191], v[174:175], v[182:183]
	v_add_f64 v[172:173], v[178:179], -v[172:173]
	v_add_f64 v[174:175], v[182:183], -v[174:175]
	v_add_f64 v[152:153], v[168:169], v[201:202]
	v_add_f64 v[154:155], v[203:204], -v[199:200]
	v_add_f64 v[160:161], v[158:159], -v[156:157]
	v_add_f64 v[162:163], v[170:171], v[197:198]
	v_add_f64 v[156:157], v[156:157], v[158:159]
	v_add_f64 v[158:159], v[197:198], -v[170:171]
	v_add_f64 v[168:169], v[201:202], -v[168:169]
	v_add_f64 v[170:171], v[199:200], v[203:204]
	v_add_f64 v[178:179], v[192:193], v[0:1]
	;; [unrolled: 1-line block ×3, first 2 shown]
	v_add_f64 v[197:198], v[192:193], -v[0:1]
	v_add_f64 v[199:200], v[194:195], -v[2:3]
	;; [unrolled: 1-line block ×4, first 2 shown]
	v_add_f64 v[0:1], v[172:173], v[176:177]
	v_add_f64 v[2:3], v[174:175], v[180:181]
	v_add_f64 v[205:206], v[172:173], -v[176:177]
	v_add_f64 v[207:208], v[174:175], -v[180:181]
	;; [unrolled: 1-line block ×6, first 2 shown]
	v_add_f64 v[184:185], v[0:1], v[184:185]
	v_add_f64 v[186:187], v[2:3], v[186:187]
	buffer_load_dword v0, off, s[40:43], 0 offset:796 ; 4-byte Folded Reload
	buffer_load_dword v1, off, s[40:43], 0 offset:800 ; 4-byte Folded Reload
	;; [unrolled: 1-line block ×4, first 2 shown]
	v_add_f64 v[192:193], v[188:189], -v[192:193]
	v_add_f64 v[194:195], v[190:191], -v[194:195]
	v_add_f64 v[178:179], v[188:189], v[178:179]
	v_add_f64 v[182:183], v[190:191], v[182:183]
	v_mul_f64 v[188:189], v[201:202], s[26:27]
	v_mul_f64 v[190:191], v[203:204], s[26:27]
	;; [unrolled: 1-line block ×8, first 2 shown]
	v_fma_f64 v[192:193], v[192:193], s[6:7], v[188:189]
	v_fma_f64 v[194:195], v[194:195], s[6:7], v[190:191]
	v_fma_f64 v[188:189], v[197:198], s[16:17], -v[188:189]
	v_fma_f64 v[190:191], v[199:200], s[16:17], -v[190:191]
	v_fma_f64 v[201:202], v[197:198], s[14:15], -v[201:202]
	v_fma_f64 v[203:204], v[199:200], s[14:15], -v[203:204]
	v_fma_f64 v[197:198], v[172:173], s[22:23], v[205:206]
	v_fma_f64 v[199:200], v[174:175], s[22:23], v[207:208]
	v_fma_f64 v[176:177], v[176:177], s[4:5], -v[205:206]
	v_fma_f64 v[180:181], v[180:181], s[4:5], -v[207:208]
	v_fma_f64 v[172:173], v[172:173], s[8:9], v[209:210]
	v_fma_f64 v[174:175], v[174:175], s[8:9], v[211:212]
	s_mul_hi_u32 s6, s0, 0xffff8270
	s_sub_i32 s6, s6, s0
	v_fma_f64 v[197:198], v[184:185], s[2:3], v[197:198]
	v_fma_f64 v[199:200], v[186:187], s[2:3], v[199:200]
	;; [unrolled: 1-line block ×6, first 2 shown]
	s_mov_b32 s2, 0x5cf97efd
	s_mov_b32 s3, 0x3f3b4b98
	s_waitcnt vmcnt(2)
	v_add_f64 v[0:1], v[0:1], v[178:179]
	s_waitcnt vmcnt(0)
	v_add_f64 v[2:3], v[2:3], v[182:183]
	v_fma_f64 v[178:179], v[178:179], s[18:19], v[0:1]
	v_fma_f64 v[182:183], v[182:183], s[18:19], v[2:3]
	v_add_f64 v[192:193], v[192:193], v[178:179]
	v_add_f64 v[194:195], v[194:195], v[182:183]
	;; [unrolled: 1-line block ×7, first 2 shown]
	v_add_f64 v[174:175], v[194:195], -v[197:198]
	v_add_f64 v[180:181], v[201:202], -v[207:208]
	v_add_f64 v[182:183], v[205:206], v[203:204]
	v_add_f64 v[176:177], v[211:212], v[188:189]
	v_add_f64 v[178:179], v[190:191], -v[209:210]
	v_add_f64 v[184:185], v[207:208], v[201:202]
	v_add_f64 v[186:187], v[203:204], -v[205:206]
	v_add_f64 v[188:189], v[188:189], -v[211:212]
	v_add_f64 v[190:191], v[209:210], v[190:191]
	v_add_f64 v[192:193], v[192:193], -v[199:200]
	v_add_f64 v[194:195], v[197:198], v[194:195]
	ds_write_b128 v196, v[8:11]
	ds_write_b128 v196, v[20:23] offset:5488
	ds_write_b128 v196, v[16:19] offset:10976
	;; [unrolled: 1-line block ×48, first 2 shown]
	s_waitcnt lgkmcnt(0)
	; wave barrier
	s_waitcnt lgkmcnt(0)
	ds_read_b128 v[0:3], v196
	buffer_load_dword v6, off, s[40:43], 0 offset:28 ; 4-byte Folded Reload
	buffer_load_dword v7, off, s[40:43], 0 offset:32 ; 4-byte Folded Reload
	buffer_load_dword v8, off, s[40:43], 0 offset:36 ; 4-byte Folded Reload
	buffer_load_dword v9, off, s[40:43], 0 offset:40 ; 4-byte Folded Reload
	s_waitcnt vmcnt(0) lgkmcnt(0)
	v_mul_f64 v[4:5], v[8:9], v[2:3]
	v_fma_f64 v[4:5], v[6:7], v[0:1], v[4:5]
	v_mul_f64 v[0:1], v[8:9], v[0:1]
	v_mov_b32_e32 v8, s13
	v_mul_f64 v[4:5], v[4:5], s[2:3]
	v_fma_f64 v[0:1], v[6:7], v[2:3], -v[0:1]
	buffer_load_dword v2, off, s[40:43], 0  ; 4-byte Folded Reload
	v_mul_f64 v[6:7], v[0:1], s[2:3]
	s_waitcnt vmcnt(0)
	v_mad_u64_u32 v[0:1], s[4:5], s0, v2, 0
	v_mad_u64_u32 v[1:2], s[4:5], s1, v2, v[1:2]
	buffer_load_dword v2, off, s[40:43], 0 offset:20 ; 4-byte Folded Reload
	buffer_load_dword v3, off, s[40:43], 0 offset:24 ; 4-byte Folded Reload
	s_mul_i32 s4, s1, 0x1570
	v_lshlrev_b64 v[0:1], 4, v[0:1]
	s_mul_hi_u32 s5, s0, 0x1570
	s_add_i32 s4, s5, s4
	s_mul_i32 s5, s0, 0x1570
	s_mulk_i32 s1, 0x8270
	s_add_i32 s1, s6, s1
	s_mulk_i32 s0, 0x8270
	s_waitcnt vmcnt(0)
	v_lshlrev_b64 v[2:3], 4, v[2:3]
	v_add_co_u32_e32 v2, vcc, s12, v2
	v_addc_co_u32_e32 v3, vcc, v8, v3, vcc
	v_add_co_u32_e32 v8, vcc, v2, v0
	v_addc_co_u32_e32 v9, vcc, v3, v1, vcc
	global_store_dwordx4 v[8:9], v[4:7], off
	ds_read_b128 v[0:3], v196 offset:5488
	buffer_load_dword v10, off, s[40:43], 0 offset:44 ; 4-byte Folded Reload
	buffer_load_dword v11, off, s[40:43], 0 offset:48 ; 4-byte Folded Reload
	buffer_load_dword v12, off, s[40:43], 0 offset:52 ; 4-byte Folded Reload
	buffer_load_dword v13, off, s[40:43], 0 offset:56 ; 4-byte Folded Reload
	v_add_co_u32_e32 v8, vcc, s5, v8
	s_waitcnt vmcnt(0) lgkmcnt(0)
	v_mul_f64 v[4:5], v[12:13], v[2:3]
	v_fma_f64 v[4:5], v[10:11], v[0:1], v[4:5]
	v_mul_f64 v[0:1], v[12:13], v[0:1]
	v_mul_f64 v[4:5], v[4:5], s[2:3]
	v_fma_f64 v[0:1], v[10:11], v[2:3], -v[0:1]
	v_mul_f64 v[6:7], v[0:1], s[2:3]
	v_mov_b32_e32 v0, s4
	v_addc_co_u32_e32 v9, vcc, v9, v0, vcc
	ds_read_b128 v[0:3], v196 offset:10976
	global_store_dwordx4 v[8:9], v[4:7], off
	buffer_load_dword v10, off, s[40:43], 0 offset:60 ; 4-byte Folded Reload
	buffer_load_dword v11, off, s[40:43], 0 offset:64 ; 4-byte Folded Reload
	buffer_load_dword v12, off, s[40:43], 0 offset:68 ; 4-byte Folded Reload
	buffer_load_dword v13, off, s[40:43], 0 offset:72 ; 4-byte Folded Reload
	v_add_co_u32_e32 v8, vcc, s5, v8
	s_waitcnt vmcnt(0) lgkmcnt(0)
	v_mul_f64 v[4:5], v[12:13], v[2:3]
	v_fma_f64 v[4:5], v[10:11], v[0:1], v[4:5]
	v_mul_f64 v[0:1], v[12:13], v[0:1]
	v_mul_f64 v[4:5], v[4:5], s[2:3]
	v_fma_f64 v[0:1], v[10:11], v[2:3], -v[0:1]
	v_mul_f64 v[6:7], v[0:1], s[2:3]
	v_mov_b32_e32 v0, s4
	v_addc_co_u32_e32 v9, vcc, v9, v0, vcc
	ds_read_b128 v[0:3], v196 offset:16464
	global_store_dwordx4 v[8:9], v[4:7], off
	;; [unrolled: 16-line block ×45, first 2 shown]
	buffer_load_dword v10, off, s[40:43], 0 offset:764 ; 4-byte Folded Reload
	buffer_load_dword v11, off, s[40:43], 0 offset:768 ; 4-byte Folded Reload
	;; [unrolled: 1-line block ×4, first 2 shown]
	s_waitcnt vmcnt(0) lgkmcnt(0)
	v_mul_f64 v[4:5], v[12:13], v[2:3]
	v_fma_f64 v[4:5], v[10:11], v[0:1], v[4:5]
	v_mul_f64 v[0:1], v[12:13], v[0:1]
	v_mul_f64 v[4:5], v[4:5], s[2:3]
	v_fma_f64 v[0:1], v[10:11], v[2:3], -v[0:1]
	v_add_co_u32_e32 v10, vcc, s5, v8
	v_mul_f64 v[6:7], v[0:1], s[2:3]
	v_mov_b32_e32 v0, s4
	v_addc_co_u32_e32 v11, vcc, v9, v0, vcc
	ds_read_b128 v[0:3], v196 offset:32144
	global_store_dwordx4 v[10:11], v[4:7], off
	buffer_load_dword v12, off, s[40:43], 0 offset:780 ; 4-byte Folded Reload
	buffer_load_dword v13, off, s[40:43], 0 offset:784 ; 4-byte Folded Reload
	;; [unrolled: 1-line block ×4, first 2 shown]
	s_waitcnt vmcnt(0) lgkmcnt(0)
	v_mul_f64 v[4:5], v[14:15], v[2:3]
	v_fma_f64 v[4:5], v[12:13], v[0:1], v[4:5]
	v_mul_f64 v[0:1], v[14:15], v[0:1]
	v_mul_f64 v[6:7], v[4:5], s[2:3]
	v_fma_f64 v[0:1], v[12:13], v[2:3], -v[0:1]
	v_add_co_u32_e32 v4, vcc, s5, v10
	v_mul_f64 v[8:9], v[0:1], s[2:3]
	v_mov_b32_e32 v0, s4
	v_addc_co_u32_e32 v5, vcc, v11, v0, vcc
	ds_read_b128 v[0:3], v196 offset:37632
	global_store_dwordx4 v[4:5], v[6:9], off
	buffer_load_dword v8, off, s[40:43], 0 offset:4 ; 4-byte Folded Reload
	s_nop 0
	buffer_load_dword v9, off, s[40:43], 0 offset:8 ; 4-byte Folded Reload
	buffer_load_dword v10, off, s[40:43], 0 offset:12 ; 4-byte Folded Reload
	;; [unrolled: 1-line block ×3, first 2 shown]
	s_waitcnt vmcnt(0) lgkmcnt(0)
	v_mul_f64 v[6:7], v[10:11], v[2:3]
	v_fma_f64 v[6:7], v[8:9], v[0:1], v[6:7]
	v_mul_f64 v[0:1], v[10:11], v[0:1]
	v_mul_f64 v[6:7], v[6:7], s[2:3]
	v_fma_f64 v[0:1], v[8:9], v[2:3], -v[0:1]
	v_mul_f64 v[8:9], v[0:1], s[2:3]
	v_add_co_u32_e32 v0, vcc, s5, v4
	v_mov_b32_e32 v1, s4
	v_addc_co_u32_e32 v1, vcc, v5, v1, vcc
	global_store_dwordx4 v[0:1], v[6:9], off
.LBB0_2:
	s_endpgm
	.section	.rodata,"a",@progbits
	.p2align	6, 0x0
	.amdhsa_kernel bluestein_single_fwd_len2401_dim1_dp_op_CI_CI
		.amdhsa_group_segment_fixed_size 38416
		.amdhsa_private_segment_fixed_size 2936
		.amdhsa_kernarg_size 104
		.amdhsa_user_sgpr_count 6
		.amdhsa_user_sgpr_private_segment_buffer 1
		.amdhsa_user_sgpr_dispatch_ptr 0
		.amdhsa_user_sgpr_queue_ptr 0
		.amdhsa_user_sgpr_kernarg_segment_ptr 1
		.amdhsa_user_sgpr_dispatch_id 0
		.amdhsa_user_sgpr_flat_scratch_init 0
		.amdhsa_user_sgpr_private_segment_size 0
		.amdhsa_uses_dynamic_stack 0
		.amdhsa_system_sgpr_private_segment_wavefront_offset 1
		.amdhsa_system_sgpr_workgroup_id_x 1
		.amdhsa_system_sgpr_workgroup_id_y 0
		.amdhsa_system_sgpr_workgroup_id_z 0
		.amdhsa_system_sgpr_workgroup_info 0
		.amdhsa_system_vgpr_workitem_id 0
		.amdhsa_next_free_vgpr 256
		.amdhsa_next_free_sgpr 44
		.amdhsa_reserve_vcc 1
		.amdhsa_reserve_flat_scratch 0
		.amdhsa_float_round_mode_32 0
		.amdhsa_float_round_mode_16_64 0
		.amdhsa_float_denorm_mode_32 3
		.amdhsa_float_denorm_mode_16_64 3
		.amdhsa_dx10_clamp 1
		.amdhsa_ieee_mode 1
		.amdhsa_fp16_overflow 0
		.amdhsa_exception_fp_ieee_invalid_op 0
		.amdhsa_exception_fp_denorm_src 0
		.amdhsa_exception_fp_ieee_div_zero 0
		.amdhsa_exception_fp_ieee_overflow 0
		.amdhsa_exception_fp_ieee_underflow 0
		.amdhsa_exception_fp_ieee_inexact 0
		.amdhsa_exception_int_div_zero 0
	.end_amdhsa_kernel
	.text
.Lfunc_end0:
	.size	bluestein_single_fwd_len2401_dim1_dp_op_CI_CI, .Lfunc_end0-bluestein_single_fwd_len2401_dim1_dp_op_CI_CI
                                        ; -- End function
	.section	.AMDGPU.csdata,"",@progbits
; Kernel info:
; codeLenInByte = 79040
; NumSgprs: 48
; NumVgprs: 256
; ScratchSize: 2936
; MemoryBound: 0
; FloatMode: 240
; IeeeMode: 1
; LDSByteSize: 38416 bytes/workgroup (compile time only)
; SGPRBlocks: 5
; VGPRBlocks: 63
; NumSGPRsForWavesPerEU: 48
; NumVGPRsForWavesPerEU: 256
; Occupancy: 1
; WaveLimiterHint : 1
; COMPUTE_PGM_RSRC2:SCRATCH_EN: 1
; COMPUTE_PGM_RSRC2:USER_SGPR: 6
; COMPUTE_PGM_RSRC2:TRAP_HANDLER: 0
; COMPUTE_PGM_RSRC2:TGID_X_EN: 1
; COMPUTE_PGM_RSRC2:TGID_Y_EN: 0
; COMPUTE_PGM_RSRC2:TGID_Z_EN: 0
; COMPUTE_PGM_RSRC2:TIDIG_COMP_CNT: 0
	.type	__hip_cuid_c2228b3ec79a63e2,@object ; @__hip_cuid_c2228b3ec79a63e2
	.section	.bss,"aw",@nobits
	.globl	__hip_cuid_c2228b3ec79a63e2
__hip_cuid_c2228b3ec79a63e2:
	.byte	0                               ; 0x0
	.size	__hip_cuid_c2228b3ec79a63e2, 1

	.ident	"AMD clang version 19.0.0git (https://github.com/RadeonOpenCompute/llvm-project roc-6.4.0 25133 c7fe45cf4b819c5991fe208aaa96edf142730f1d)"
	.section	".note.GNU-stack","",@progbits
	.addrsig
	.addrsig_sym __hip_cuid_c2228b3ec79a63e2
	.amdgpu_metadata
---
amdhsa.kernels:
  - .args:
      - .actual_access:  read_only
        .address_space:  global
        .offset:         0
        .size:           8
        .value_kind:     global_buffer
      - .actual_access:  read_only
        .address_space:  global
        .offset:         8
        .size:           8
        .value_kind:     global_buffer
      - .actual_access:  read_only
        .address_space:  global
        .offset:         16
        .size:           8
        .value_kind:     global_buffer
      - .actual_access:  read_only
        .address_space:  global
        .offset:         24
        .size:           8
        .value_kind:     global_buffer
      - .actual_access:  read_only
        .address_space:  global
        .offset:         32
        .size:           8
        .value_kind:     global_buffer
      - .offset:         40
        .size:           8
        .value_kind:     by_value
      - .address_space:  global
        .offset:         48
        .size:           8
        .value_kind:     global_buffer
      - .address_space:  global
        .offset:         56
        .size:           8
        .value_kind:     global_buffer
      - .address_space:  global
        .offset:         64
        .size:           8
        .value_kind:     global_buffer
      - .address_space:  global
        .offset:         72
        .size:           8
        .value_kind:     global_buffer
      - .offset:         80
        .size:           4
        .value_kind:     by_value
      - .address_space:  global
        .offset:         88
        .size:           8
        .value_kind:     global_buffer
      - .address_space:  global
        .offset:         96
        .size:           8
        .value_kind:     global_buffer
    .group_segment_fixed_size: 38416
    .kernarg_segment_align: 8
    .kernarg_segment_size: 104
    .language:       OpenCL C
    .language_version:
      - 2
      - 0
    .max_flat_workgroup_size: 49
    .name:           bluestein_single_fwd_len2401_dim1_dp_op_CI_CI
    .private_segment_fixed_size: 2936
    .sgpr_count:     48
    .sgpr_spill_count: 0
    .symbol:         bluestein_single_fwd_len2401_dim1_dp_op_CI_CI.kd
    .uniform_work_group_size: 1
    .uses_dynamic_stack: false
    .vgpr_count:     256
    .vgpr_spill_count: 816
    .wavefront_size: 64
amdhsa.target:   amdgcn-amd-amdhsa--gfx906
amdhsa.version:
  - 1
  - 2
...

	.end_amdgpu_metadata
